;; amdgpu-corpus repo=ROCm/rocFFT kind=compiled arch=gfx950 opt=O3
	.text
	.amdgcn_target "amdgcn-amd-amdhsa--gfx950"
	.amdhsa_code_object_version 6
	.protected	bluestein_single_back_len1377_dim1_dp_op_CI_CI ; -- Begin function bluestein_single_back_len1377_dim1_dp_op_CI_CI
	.globl	bluestein_single_back_len1377_dim1_dp_op_CI_CI
	.p2align	8
	.type	bluestein_single_back_len1377_dim1_dp_op_CI_CI,@function
bluestein_single_back_len1377_dim1_dp_op_CI_CI: ; @bluestein_single_back_len1377_dim1_dp_op_CI_CI
; %bb.0:
	s_load_dwordx4 s[8:11], s[0:1], 0x28
	v_mul_u32_u24_e32 v1, 0x506, v0
	v_mov_b32_e32 v141, 0
	v_add_u32_sdwa v6, s2, v1 dst_sel:DWORD dst_unused:UNUSED_PAD src0_sel:DWORD src1_sel:WORD_1
	v_mov_b32_e32 v7, v141
	s_waitcnt lgkmcnt(0)
	v_cmp_gt_u64_e32 vcc, s[8:9], v[6:7]
	s_and_saveexec_b64 s[2:3], vcc
	s_cbranch_execz .LBB0_15
; %bb.1:
	s_load_dwordx4 s[4:7], s[0:1], 0x18
	s_load_dwordx2 s[12:13], s[0:1], 0x0
	v_mov_b32_e32 v2, s10
	v_mov_b32_e32 v3, s11
	;; [unrolled: 1-line block ×3, first 2 shown]
	s_waitcnt lgkmcnt(0)
	s_load_dwordx4 s[8:11], s[4:5], 0x0
	v_mul_lo_u16_sdwa v1, v1, v4 dst_sel:DWORD dst_unused:UNUSED_PAD src0_sel:WORD_1 src1_sel:DWORD
	v_sub_u16_e32 v140, v0, v1
	v_accvgpr_write_b32 a4, v6
	v_lshlrev_b32_e32 v160, 4, v140
	s_waitcnt lgkmcnt(0)
	v_mad_u64_u32 v[0:1], s[2:3], s10, v6, 0
	v_mov_b32_e32 v4, v1
	v_mad_u64_u32 v[4:5], s[2:3], s11, v6, v[4:5]
	v_mov_b32_e32 v1, v4
	v_mad_u64_u32 v[4:5], s[2:3], s8, v140, 0
	v_mov_b32_e32 v6, v5
	v_mad_u64_u32 v[6:7], s[2:3], s9, v140, v[6:7]
	v_mov_b32_e32 v5, v6
	v_lshl_add_u64 v[0:1], v[0:1], 4, v[2:3]
	s_mul_i32 s2, s9, 0x51
	s_mul_hi_u32 s3, s8, 0x51
	v_lshl_add_u64 v[4:5], v[4:5], 4, v[0:1]
	s_add_i32 s3, s3, s2
	s_mul_i32 s2, s8, 0x51
	global_load_dwordx4 v[88:91], v160, s[12:13]
	global_load_dwordx4 v[0:3], v[4:5], off
	s_lshl_b64 s[10:11], s[2:3], 4
	v_lshl_add_u64 v[8:9], v[4:5], 0, s[10:11]
	global_load_dwordx4 v[4:7], v[8:9], off
	global_load_dwordx4 v[124:127], v160, s[12:13] offset:1296
	v_mov_b32_e32 v161, v141
	global_load_dwordx4 v[92:95], v160, s[12:13] offset:2592
	v_lshl_add_u64 v[38:39], s[12:13], 0, v[160:161]
	v_lshl_add_u64 v[16:17], v[8:9], 0, s[10:11]
	s_movk_i32 s2, 0x1000
	v_lshl_add_u64 v[18:19], v[16:17], 0, s[10:11]
	global_load_dwordx4 v[12:15], v[16:17], off
	global_load_dwordx4 v[8:11], v[18:19], off
	global_load_dwordx4 v[108:111], v160, s[12:13] offset:3888
	v_add_co_u32_e32 v40, vcc, s2, v38
	v_lshl_add_u64 v[20:21], v[18:19], 0, s[10:11]
	s_nop 0
	v_addc_co_u32_e32 v41, vcc, 0, v39, vcc
	global_load_dwordx4 v[16:19], v[20:21], off
	global_load_dwordx4 v[100:103], v[40:41], off offset:1088
	v_lshl_add_u64 v[24:25], v[20:21], 0, s[10:11]
	global_load_dwordx4 v[20:23], v[24:25], off
	global_load_dwordx4 v[112:115], v[40:41], off offset:2384
	v_lshl_add_u64 v[28:29], v[24:25], 0, s[10:11]
	s_movk_i32 s2, 0x2000
	global_load_dwordx4 v[24:27], v[28:29], off
	global_load_dwordx4 v[96:99], v[40:41], off offset:3680
	v_add_co_u32_e32 v72, vcc, s2, v38
	v_lshl_add_u64 v[32:33], v[28:29], 0, s[10:11]
	s_nop 0
	v_addc_co_u32_e32 v73, vcc, 0, v39, vcc
	global_load_dwordx4 v[28:31], v[32:33], off
	global_load_dwordx4 v[128:131], v[72:73], off offset:880
	v_lshl_add_u64 v[36:37], v[32:33], 0, s[10:11]
	global_load_dwordx4 v[32:35], v[36:37], off
	global_load_dwordx4 v[104:107], v[72:73], off offset:2176
	v_lshl_add_u64 v[36:37], v[36:37], 0, s[10:11]
	s_movk_i32 s4, 0x3000
	global_load_dwordx4 v[42:45], v[36:37], off
	global_load_dwordx4 v[132:135], v[72:73], off offset:3472
	v_add_co_u32_e32 v68, vcc, s4, v38
	v_lshl_add_u64 v[36:37], v[36:37], 0, s[10:11]
	s_nop 0
	v_addc_co_u32_e32 v69, vcc, 0, v39, vcc
	global_load_dwordx4 v[46:49], v[36:37], off
	global_load_dwordx4 v[116:119], v[68:69], off offset:672
	v_lshl_add_u64 v[36:37], v[36:37], 0, s[10:11]
	s_load_dwordx4 s[4:7], s[6:7], 0x0
	global_load_dwordx4 v[50:53], v[36:37], off
	global_load_dwordx4 v[146:149], v[68:69], off offset:1968
	v_lshl_add_u64 v[36:37], v[36:37], 0, s[10:11]
	s_movk_i32 s14, 0x4000
	global_load_dwordx4 v[54:57], v[36:37], off
	global_load_dwordx4 v[120:123], v[68:69], off offset:3264
	v_add_co_u32_e32 v70, vcc, s14, v38
	v_lshl_add_u64 v[36:37], v[36:37], 0, s[10:11]
	s_nop 0
	v_addc_co_u32_e32 v71, vcc, 0, v39, vcc
	global_load_dwordx4 v[58:61], v[36:37], off
	global_load_dwordx4 v[150:153], v[70:71], off offset:464
	v_lshl_add_u64 v[36:37], v[36:37], 0, s[10:11]
	global_load_dwordx4 v[62:65], v[36:37], off
	global_load_dwordx4 v[136:139], v[70:71], off offset:1760
	v_lshl_add_u64 v[36:37], v[36:37], 0, s[10:11]
	s_movk_i32 s14, 0x5000
	global_load_dwordx4 v[76:79], v[36:37], off
	global_load_dwordx4 v[142:145], v[70:71], off offset:3056
	v_add_co_u32_e32 v74, vcc, s14, v38
	v_accvgpr_write_b32 a64, v39            ;  Reload Reuse
	s_nop 0
	v_addc_co_u32_e32 v75, vcc, 0, v39, vcc
	v_lshl_add_u64 v[36:37], v[36:37], 0, s[10:11]
	global_load_dwordx4 v[154:157], v[74:75], off offset:256
	global_load_dwordx4 v[84:87], v[36:37], off
	s_load_dwordx2 s[2:3], s[0:1], 0x38
	v_accvgpr_write_b32 a65, v38            ;  Reload Reuse
	v_cmp_gt_u16_e32 vcc, 30, v140
	s_waitcnt vmcnt(33)
	v_accvgpr_write_b32 a6, v88
	s_waitcnt vmcnt(32)
	v_mul_f64 v[80:81], v[2:3], v[90:91]
	v_fmac_f64_e32 v[80:81], v[0:1], v[88:89]
	v_mul_f64 v[0:1], v[0:1], v[90:91]
	v_fma_f64 v[82:83], v[2:3], v[88:89], -v[0:1]
	s_waitcnt vmcnt(30)
	v_mul_f64 v[0:1], v[6:7], v[126:127]
	v_mul_f64 v[2:3], v[4:5], v[126:127]
	v_fmac_f64_e32 v[0:1], v[4:5], v[124:125]
	v_fma_f64 v[2:3], v[6:7], v[124:125], -v[2:3]
	ds_write_b128 v160, v[0:3] offset:1296
	s_waitcnt vmcnt(28)
	v_mul_f64 v[0:1], v[14:15], v[94:95]
	v_mul_f64 v[2:3], v[12:13], v[94:95]
	v_fmac_f64_e32 v[0:1], v[12:13], v[92:93]
	v_fma_f64 v[2:3], v[14:15], v[92:93], -v[2:3]
	ds_write_b128 v160, v[0:3] offset:2592
	;; [unrolled: 6-line block ×14, first 2 shown]
	s_waitcnt vmcnt(2)
	v_mul_f64 v[0:1], v[78:79], v[144:145]
	v_mul_f64 v[2:3], v[76:77], v[144:145]
	v_fmac_f64_e32 v[0:1], v[76:77], v[142:143]
	v_fma_f64 v[2:3], v[78:79], v[142:143], -v[2:3]
	v_accvgpr_write_b32 a42, v124
	v_accvgpr_write_b32 a10, v92
	;; [unrolled: 1-line block ×10, first 2 shown]
	ds_write_b128 v160, v[0:3] offset:19440
	s_waitcnt vmcnt(0)
	v_mul_f64 v[0:1], v[86:87], v[156:157]
	v_mul_f64 v[2:3], v[84:85], v[156:157]
	v_accvgpr_write_b32 a7, v89
	v_accvgpr_write_b32 a8, v90
	;; [unrolled: 1-line block ×33, first 2 shown]
	v_fmac_f64_e32 v[0:1], v[84:85], v[154:155]
	v_fma_f64 v[2:3], v[86:87], v[154:155], -v[2:3]
	ds_write_b128 v160, v[80:83]
	scratch_store_dwordx4 off, v[146:149], off offset:84 ; 16-byte Folded Spill
	scratch_store_dwordx4 off, v[120:123], off offset:68 ; 16-byte Folded Spill
	;; [unrolled: 1-line block ×6, first 2 shown]
	ds_write_b128 v160, v[0:3] offset:20736
	s_and_saveexec_b64 s[14:15], vcc
	s_cbranch_execz .LBB0_3
; %bb.2:
	v_mov_b32_e32 v0, 0xffffb230
	s_mulk_i32 s9, 0xb230
	v_mad_u64_u32 v[8:9], s[16:17], s8, v0, v[36:37]
	s_sub_i32 s8, s9, s8
	v_accvgpr_read_b32 v21, a64             ;  Reload Reuse
	v_add_u32_e32 v9, s8, v9
	v_accvgpr_read_b32 v20, a65             ;  Reload Reuse
	global_load_dwordx4 v[0:3], v[8:9], off
	global_load_dwordx4 v[4:7], v[20:21], off offset:816
	v_lshl_add_u64 v[16:17], v[8:9], 0, s[10:11]
	global_load_dwordx4 v[8:11], v[16:17], off
	global_load_dwordx4 v[12:15], v[20:21], off offset:2112
	v_lshl_add_u64 v[28:29], v[16:17], 0, s[10:11]
	v_lshl_add_u64 v[32:33], v[28:29], 0, s[10:11]
	global_load_dwordx4 v[16:19], v[28:29], off
	s_nop 0
	global_load_dwordx4 v[20:23], v[20:21], off offset:3408
	s_nop 0
	global_load_dwordx4 v[24:27], v[40:41], off offset:608
	global_load_dwordx4 v[28:31], v[32:33], off
	v_lshl_add_u64 v[44:45], v[32:33], 0, s[10:11]
	v_lshl_add_u64 v[48:49], v[44:45], 0, s[10:11]
	global_load_dwordx4 v[32:35], v[44:45], off
	global_load_dwordx4 v[36:39], v[40:41], off offset:1904
	s_nop 0
	global_load_dwordx4 v[40:43], v[40:41], off offset:3200
	v_lshl_add_u64 v[60:61], v[48:49], 0, s[10:11]
	global_load_dwordx4 v[44:47], v[48:49], off
	v_lshl_add_u64 v[64:65], v[60:61], 0, s[10:11]
	global_load_dwordx4 v[48:51], v[60:61], off
	global_load_dwordx4 v[52:55], v[72:73], off offset:400
	global_load_dwordx4 v[56:59], v[72:73], off offset:1696
	v_lshl_add_u64 v[84:85], v[64:65], 0, s[10:11]
	global_load_dwordx4 v[60:63], v[64:65], off
	s_nop 0
	global_load_dwordx4 v[64:67], v[84:85], off
	global_load_dwordx4 v[76:79], v[72:73], off offset:2992
	global_load_dwordx4 v[80:83], v[68:69], off offset:192
	v_lshl_add_u64 v[72:73], v[84:85], 0, s[10:11]
	global_load_dwordx4 v[84:87], v[72:73], off
	v_lshl_add_u64 v[72:73], v[72:73], 0, s[10:11]
	global_load_dwordx4 v[88:91], v[72:73], off
	global_load_dwordx4 v[92:95], v[68:69], off offset:1488
	global_load_dwordx4 v[96:99], v[68:69], off offset:2784
	v_lshl_add_u64 v[72:73], v[72:73], 0, s[10:11]
	global_load_dwordx4 v[100:103], v[72:73], off
	v_lshl_add_u64 v[72:73], v[72:73], 0, s[10:11]
	;; [unrolled: 6-line block ×3, first 2 shown]
	global_load_dwordx4 v[120:123], v[72:73], off
	global_load_dwordx4 v[124:127], v[70:71], off offset:2576
	s_nop 0
	global_load_dwordx4 v[68:71], v[70:71], off offset:3872
	v_lshl_add_u64 v[132:133], v[72:73], 0, s[10:11]
	global_load_dwordx4 v[128:131], v[132:133], off
	s_nop 0
	global_load_dwordx4 v[72:75], v[74:75], off offset:1072
	v_lshl_add_u64 v[132:133], v[132:133], 0, s[10:11]
	global_load_dwordx4 v[132:135], v[132:133], off
	s_waitcnt vmcnt(32)
	v_mul_f64 v[136:137], v[2:3], v[6:7]
	v_mul_f64 v[6:7], v[0:1], v[6:7]
	v_fmac_f64_e32 v[136:137], v[0:1], v[4:5]
	v_fma_f64 v[138:139], v[2:3], v[4:5], -v[6:7]
	s_waitcnt vmcnt(30)
	v_mul_f64 v[0:1], v[10:11], v[14:15]
	v_mul_f64 v[2:3], v[8:9], v[14:15]
	v_fmac_f64_e32 v[0:1], v[8:9], v[12:13]
	v_fma_f64 v[2:3], v[10:11], v[12:13], -v[2:3]
	ds_write_b128 v160, v[0:3] offset:2112
	s_waitcnt vmcnt(26)
	v_mul_f64 v[0:1], v[30:31], v[26:27]
	v_mul_f64 v[2:3], v[28:29], v[26:27]
	v_fmac_f64_e32 v[0:1], v[28:29], v[24:25]
	v_fma_f64 v[2:3], v[30:31], v[24:25], -v[2:3]
	ds_write_b128 v160, v[0:3] offset:4704
	;; [unrolled: 6-line block ×9, first 2 shown]
	s_waitcnt vmcnt(6)
	v_mul_f64 v[0:1], v[118:119], v[114:115]
	v_mul_f64 v[2:3], v[116:117], v[114:115]
	v_fmac_f64_e32 v[0:1], v[116:117], v[112:113]
	v_fma_f64 v[2:3], v[118:119], v[112:113], -v[2:3]
	v_mul_f64 v[4:5], v[18:19], v[22:23]
	v_mul_f64 v[6:7], v[16:17], v[22:23]
	ds_write_b128 v160, v[0:3] offset:17664
	s_waitcnt vmcnt(4)
	v_mul_f64 v[0:1], v[122:123], v[126:127]
	v_mul_f64 v[2:3], v[120:121], v[126:127]
	v_fmac_f64_e32 v[4:5], v[16:17], v[20:21]
	v_fma_f64 v[6:7], v[18:19], v[20:21], -v[6:7]
	v_fmac_f64_e32 v[0:1], v[120:121], v[124:125]
	v_fma_f64 v[2:3], v[122:123], v[124:125], -v[2:3]
	ds_write_b128 v160, v[4:7] offset:3408
	v_mul_f64 v[4:5], v[34:35], v[38:39]
	v_mul_f64 v[6:7], v[32:33], v[38:39]
	ds_write_b128 v160, v[0:3] offset:18960
	s_waitcnt vmcnt(2)
	v_mul_f64 v[0:1], v[130:131], v[70:71]
	v_mul_f64 v[2:3], v[128:129], v[70:71]
	v_fmac_f64_e32 v[4:5], v[32:33], v[36:37]
	v_fma_f64 v[6:7], v[34:35], v[36:37], -v[6:7]
	v_fmac_f64_e32 v[0:1], v[128:129], v[68:69]
	v_fma_f64 v[2:3], v[130:131], v[68:69], -v[2:3]
	ds_write_b128 v160, v[4:7] offset:6000
	;; [unrolled: 11-line block ×3, first 2 shown]
	ds_write_b128 v160, v[4:7] offset:8592
	ds_write_b128 v160, v[0:3] offset:21552
.LBB0_3:
	s_or_b64 exec, exec, s[14:15]
	s_waitcnt lgkmcnt(0)
	; wave barrier
	s_waitcnt lgkmcnt(0)
	ds_read_b128 v[124:127], v160
	ds_read_b128 v[132:135], v160 offset:1296
	ds_read_b128 v[120:123], v160 offset:2592
	;; [unrolled: 1-line block ×16, first 2 shown]
	s_load_dwordx2 s[8:9], s[0:1], 0x8
	v_accvgpr_write_b32 a2, v140
	v_accvgpr_write_b32 a3, v141
                                        ; implicit-def: $vgpr0_vgpr1
                                        ; implicit-def: $vgpr28_vgpr29
                                        ; implicit-def: $vgpr32_vgpr33
                                        ; implicit-def: $vgpr178_vgpr179
                                        ; implicit-def: $vgpr186_vgpr187
                                        ; implicit-def: $vgpr192_vgpr193
                                        ; implicit-def: $vgpr202_vgpr203
                                        ; implicit-def: $vgpr206_vgpr207
                                        ; implicit-def: $vgpr222_vgpr223
                                        ; implicit-def: $vgpr36_vgpr37
                                        ; implicit-def: $vgpr40_vgpr41
                                        ; implicit-def: $vgpr44_vgpr45
                                        ; implicit-def: $vgpr48_vgpr49
                                        ; implicit-def: $vgpr52_vgpr53
                                        ; implicit-def: $vgpr56_vgpr57
                                        ; implicit-def: $vgpr60_vgpr61
                                        ; implicit-def: $vgpr64_vgpr65
	s_and_saveexec_b64 s[0:1], vcc
	s_cbranch_execz .LBB0_5
; %bb.4:
	ds_read_b128 v[0:3], v160 offset:816
	ds_read_b128 v[28:31], v160 offset:2112
	ds_read_b128 v[32:35], v160 offset:3408
	ds_read_b128 v[178:181], v160 offset:4704
	ds_read_b128 v[186:189], v160 offset:6000
	ds_read_b128 v[192:195], v160 offset:7296
	ds_read_b128 v[202:205], v160 offset:8592
	ds_read_b128 v[206:209], v160 offset:9888
	ds_read_b128 v[222:225], v160 offset:11184
	ds_read_b128 v[36:39], v160 offset:12480
	ds_read_b128 v[40:43], v160 offset:13776
	ds_read_b128 v[44:47], v160 offset:15072
	ds_read_b128 v[48:51], v160 offset:16368
	ds_read_b128 v[52:55], v160 offset:17664
	ds_read_b128 v[56:59], v160 offset:18960
	ds_read_b128 v[60:63], v160 offset:20256
	ds_read_b128 v[64:67], v160 offset:21552
.LBB0_5:
	s_or_b64 exec, exec, s[0:1]
	s_waitcnt lgkmcnt(0)
	v_add_f64 v[6:7], v[126:127], v[134:135]
	v_add_f64 v[4:5], v[124:125], v[132:133]
	;; [unrolled: 1-line block ×31, first 2 shown]
	s_mov_b32 s26, 0x5d8e7cdc
	s_mov_b32 s30, 0x2a9d6da3
	;; [unrolled: 1-line block ×8, first 2 shown]
	v_add_f64 v[4:5], v[4:5], v[136:137]
	v_accvgpr_write_b32 a125, v7
	v_add_f64 v[10:11], v[134:135], -v[138:139]
	s_mov_b32 s27, 0xbfd71e95
	s_mov_b32 s31, 0xbfe58eea
	;; [unrolled: 1-line block ×9, first 2 shown]
	v_accvgpr_write_b32 a124, v6
	v_accvgpr_write_b32 a123, v5
	;; [unrolled: 1-line block ×3, first 2 shown]
	v_add_f64 v[4:5], v[132:133], v[136:137]
	v_add_f64 v[8:9], v[132:133], -v[136:137]
	v_mul_f64 v[12:13], v[10:11], s[26:27]
	s_mov_b32 s0, 0x370991
	v_mul_f64 v[20:21], v[10:11], s[30:31]
	s_mov_b32 s14, 0x75d4884
	;; [unrolled: 2-line block ×8, first 2 shown]
	s_mov_b32 s1, 0x3fedd6d0
	s_mov_b32 s15, 0x3fe7a5f6
	;; [unrolled: 1-line block ×7, first 2 shown]
	v_fma_f64 v[170:171], v[4:5], s[24:25], -v[10:11]
	v_fmac_f64_e32 v[10:11], s[24:25], v[4:5]
	v_add_f64 v[6:7], v[134:135], v[138:139]
	v_fma_f64 v[14:15], v[4:5], s[0:1], -v[12:13]
	v_mul_f64 v[16:17], v[8:9], s[26:27]
	v_fmac_f64_e32 v[12:13], s[0:1], v[4:5]
	v_fma_f64 v[22:23], v[4:5], s[14:15], -v[20:21]
	v_mul_f64 v[24:25], v[8:9], s[30:31]
	v_fmac_f64_e32 v[20:21], s[14:15], v[4:5]
	;; [unrolled: 3-line block ×7, first 2 shown]
	v_mul_f64 v[8:9], v[8:9], s[42:43]
	v_add_f64 v[4:5], v[124:125], v[10:11]
	v_add_f64 v[10:11], v[122:123], v[130:131]
	v_add_f64 v[122:123], v[122:123], -v[130:131]
	v_add_f64 v[14:15], v[124:125], v[14:15]
	v_fma_f64 v[18:19], s[0:1], v[6:7], v[16:17]
	v_add_f64 v[12:13], v[124:125], v[12:13]
	v_fma_f64 v[16:17], v[6:7], s[0:1], -v[16:17]
	v_add_f64 v[22:23], v[124:125], v[22:23]
	v_fma_f64 v[26:27], s[14:15], v[6:7], v[24:25]
	v_add_f64 v[20:21], v[124:125], v[20:21]
	v_fma_f64 v[24:25], v[6:7], s[14:15], -v[24:25]
	;; [unrolled: 4-line block ×7, first 2 shown]
	v_add_f64 v[170:171], v[124:125], v[170:171]
	v_fma_f64 v[172:173], s[24:25], v[6:7], v[8:9]
	v_fma_f64 v[6:7], v[6:7], s[24:25], -v[8:9]
	v_add_f64 v[8:9], v[120:121], v[128:129]
	v_mul_f64 v[124:125], v[122:123], s[30:31]
	v_add_f64 v[18:19], v[126:127], v[18:19]
	v_add_f64 v[16:17], v[126:127], v[16:17]
	;; [unrolled: 1-line block ×16, first 2 shown]
	v_add_f64 v[120:121], v[120:121], -v[128:129]
	v_fma_f64 v[126:127], v[8:9], s[14:15], -v[124:125]
	v_add_f64 v[14:15], v[126:127], v[14:15]
	v_mul_f64 v[126:127], v[120:121], s[30:31]
	v_fmac_f64_e32 v[124:125], s[14:15], v[8:9]
	v_add_f64 v[12:13], v[124:125], v[12:13]
	v_fma_f64 v[124:125], v[10:11], s[14:15], -v[126:127]
	v_add_f64 v[16:17], v[124:125], v[16:17]
	v_mul_f64 v[124:125], v[122:123], s[28:29]
	v_fma_f64 v[128:129], s[14:15], v[10:11], v[126:127]
	v_fma_f64 v[126:127], v[8:9], s[18:19], -v[124:125]
	v_add_f64 v[22:23], v[126:127], v[22:23]
	v_mul_f64 v[126:127], v[120:121], s[28:29]
	v_fmac_f64_e32 v[124:125], s[18:19], v[8:9]
	v_add_f64 v[20:21], v[124:125], v[20:21]
	v_fma_f64 v[124:125], v[10:11], s[18:19], -v[126:127]
	v_add_f64 v[24:25], v[124:125], v[24:25]
	v_mul_f64 v[124:125], v[122:123], s[38:39]
	v_add_f64 v[18:19], v[128:129], v[18:19]
	v_fma_f64 v[128:129], s[18:19], v[10:11], v[126:127]
	v_fma_f64 v[126:127], v[8:9], s[20:21], -v[124:125]
	v_add_f64 v[70:71], v[126:127], v[70:71]
	v_mul_f64 v[126:127], v[120:121], s[38:39]
	v_fmac_f64_e32 v[124:125], s[20:21], v[8:9]
	v_add_f64 v[26:27], v[128:129], v[26:27]
	v_fma_f64 v[128:129], s[20:21], v[10:11], v[126:127]
	v_add_f64 v[68:69], v[124:125], v[68:69]
	v_fma_f64 v[124:125], v[10:11], s[20:21], -v[126:127]
	v_mul_f64 v[126:127], v[122:123], s[42:43]
	v_add_f64 v[124:125], v[124:125], v[132:133]
	v_fma_f64 v[130:131], v[8:9], s[24:25], -v[126:127]
	v_mul_f64 v[132:133], v[120:121], s[42:43]
	v_fmac_f64_e32 v[126:127], s[24:25], v[8:9]
	s_mov_b32 s49, 0x3fe0d888
	s_mov_b32 s48, s40
	v_add_f64 v[128:129], v[128:129], v[134:135]
	v_fma_f64 v[134:135], s[24:25], v[10:11], v[132:133]
	v_add_f64 v[126:127], v[126:127], v[136:137]
	v_fma_f64 v[132:133], v[10:11], s[24:25], -v[132:133]
	v_mul_f64 v[136:137], v[122:123], s[48:49]
	v_add_f64 v[130:131], v[130:131], v[138:139]
	v_add_f64 v[132:133], v[132:133], v[140:141]
	v_fma_f64 v[138:139], v[8:9], s[22:23], -v[136:137]
	v_mul_f64 v[140:141], v[120:121], s[48:49]
	v_fmac_f64_e32 v[136:137], s[22:23], v[8:9]
	s_mov_b32 s51, 0x3feec746
	s_mov_b32 s50, s34
	v_add_f64 v[134:135], v[134:135], v[142:143]
	v_fma_f64 v[142:143], s[22:23], v[10:11], v[140:141]
	v_add_f64 v[136:137], v[136:137], v[144:145]
	v_fma_f64 v[140:141], v[10:11], s[22:23], -v[140:141]
	v_mul_f64 v[144:145], v[122:123], s[50:51]
	v_add_f64 v[138:139], v[138:139], v[146:147]
	v_add_f64 v[140:141], v[140:141], v[148:149]
	v_fma_f64 v[146:147], v[8:9], s[16:17], -v[144:145]
	v_mul_f64 v[148:149], v[120:121], s[50:51]
	v_fmac_f64_e32 v[144:145], s[16:17], v[8:9]
	s_mov_b32 s45, 0x3feca52d
	s_mov_b32 s44, s36
	v_add_f64 v[142:143], v[142:143], v[150:151]
	v_fma_f64 v[150:151], s[16:17], v[10:11], v[148:149]
	v_add_f64 v[144:145], v[144:145], v[152:153]
	v_fma_f64 v[148:149], v[10:11], s[16:17], -v[148:149]
	v_mul_f64 v[152:153], v[122:123], s[44:45]
	s_mov_b32 s47, 0x3fd71e95
	s_mov_b32 s46, s26
	v_add_f64 v[146:147], v[146:147], v[154:155]
	v_add_f64 v[148:149], v[148:149], v[156:157]
	v_fma_f64 v[154:155], v[8:9], s[10:11], -v[152:153]
	v_mul_f64 v[156:157], v[120:121], s[44:45]
	v_fmac_f64_e32 v[152:153], s[10:11], v[8:9]
	v_mul_f64 v[122:123], v[122:123], s[46:47]
	v_mul_f64 v[120:121], v[120:121], s[46:47]
	v_add_f64 v[150:151], v[150:151], v[158:159]
	v_add_f64 v[154:155], v[154:155], v[164:165]
	v_fma_f64 v[158:159], s[10:11], v[10:11], v[156:157]
	v_add_f64 v[152:153], v[152:153], v[162:163]
	v_fma_f64 v[156:157], v[10:11], s[10:11], -v[156:157]
	v_fma_f64 v[162:163], v[8:9], s[0:1], -v[122:123]
	v_fma_f64 v[164:165], s[0:1], v[10:11], v[120:121]
	v_fmac_f64_e32 v[122:123], s[0:1], v[8:9]
	v_fma_f64 v[8:9], v[10:11], s[0:1], -v[120:121]
	v_add_f64 v[10:11], v[114:115], v[118:119]
	v_add_f64 v[114:115], v[114:115], -v[118:119]
	v_add_f64 v[6:7], v[8:9], v[6:7]
	v_add_f64 v[8:9], v[112:113], v[116:117]
	v_add_f64 v[112:113], v[112:113], -v[116:117]
	v_mul_f64 v[116:117], v[114:115], s[36:37]
	v_fma_f64 v[118:119], v[8:9], s[10:11], -v[116:117]
	v_add_f64 v[14:15], v[118:119], v[14:15]
	v_mul_f64 v[118:119], v[112:113], s[36:37]
	v_fmac_f64_e32 v[116:117], s[10:11], v[8:9]
	v_add_f64 v[12:13], v[116:117], v[12:13]
	v_fma_f64 v[116:117], v[10:11], s[10:11], -v[118:119]
	v_add_f64 v[16:17], v[116:117], v[16:17]
	v_mul_f64 v[116:117], v[114:115], s[38:39]
	v_fma_f64 v[120:121], s[10:11], v[10:11], v[118:119]
	v_fma_f64 v[118:119], v[8:9], s[20:21], -v[116:117]
	v_add_f64 v[22:23], v[118:119], v[22:23]
	v_mul_f64 v[118:119], v[112:113], s[38:39]
	v_fmac_f64_e32 v[116:117], s[20:21], v[8:9]
	v_add_f64 v[20:21], v[116:117], v[20:21]
	v_fma_f64 v[116:117], v[10:11], s[20:21], -v[118:119]
	s_mov_b32 s55, 0x3fc7851a
	s_mov_b32 s54, s42
	v_add_f64 v[24:25], v[116:117], v[24:25]
	v_mul_f64 v[116:117], v[114:115], s[54:55]
	v_add_f64 v[18:19], v[120:121], v[18:19]
	v_fma_f64 v[120:121], s[20:21], v[10:11], v[118:119]
	v_fma_f64 v[118:119], v[8:9], s[24:25], -v[116:117]
	v_add_f64 v[70:71], v[118:119], v[70:71]
	v_mul_f64 v[118:119], v[112:113], s[54:55]
	v_fmac_f64_e32 v[116:117], s[24:25], v[8:9]
	v_add_f64 v[26:27], v[120:121], v[26:27]
	v_fma_f64 v[120:121], s[24:25], v[10:11], v[118:119]
	v_add_f64 v[68:69], v[116:117], v[68:69]
	v_fma_f64 v[116:117], v[10:11], s[24:25], -v[118:119]
	v_mul_f64 v[118:119], v[114:115], s[50:51]
	v_add_f64 v[4:5], v[122:123], v[4:5]
	v_add_f64 v[116:117], v[116:117], v[124:125]
	v_fma_f64 v[122:123], v[8:9], s[16:17], -v[118:119]
	v_mul_f64 v[124:125], v[112:113], s[50:51]
	v_fmac_f64_e32 v[118:119], s[16:17], v[8:9]
	s_mov_b32 s53, 0x3fe58eea
	s_mov_b32 s52, s30
	v_add_f64 v[120:121], v[120:121], v[128:129]
	v_fma_f64 v[128:129], s[16:17], v[10:11], v[124:125]
	v_add_f64 v[118:119], v[118:119], v[126:127]
	v_fma_f64 v[124:125], v[10:11], s[16:17], -v[124:125]
	v_mul_f64 v[126:127], v[114:115], s[52:53]
	v_add_f64 v[122:123], v[122:123], v[130:131]
	v_add_f64 v[124:125], v[124:125], v[132:133]
	v_fma_f64 v[130:131], v[8:9], s[14:15], -v[126:127]
	v_mul_f64 v[132:133], v[112:113], s[52:53]
	v_fmac_f64_e32 v[126:127], s[14:15], v[8:9]
	v_add_f64 v[128:129], v[128:129], v[134:135]
	v_fma_f64 v[134:135], s[14:15], v[10:11], v[132:133]
	v_add_f64 v[126:127], v[126:127], v[136:137]
	v_fma_f64 v[132:133], v[10:11], s[14:15], -v[132:133]
	v_mul_f64 v[136:137], v[114:115], s[26:27]
	v_add_f64 v[130:131], v[130:131], v[138:139]
	v_add_f64 v[132:133], v[132:133], v[140:141]
	v_fma_f64 v[138:139], v[8:9], s[0:1], -v[136:137]
	v_mul_f64 v[140:141], v[112:113], s[26:27]
	v_fmac_f64_e32 v[136:137], s[0:1], v[8:9]
	;; [unrolled: 10-line block ×3, first 2 shown]
	v_mul_f64 v[114:115], v[114:115], s[40:41]
	v_mul_f64 v[112:113], v[112:113], s[40:41]
	v_add_f64 v[142:143], v[142:143], v[150:151]
	v_add_f64 v[146:147], v[146:147], v[154:155]
	v_fma_f64 v[150:151], s[18:19], v[10:11], v[148:149]
	v_add_f64 v[144:145], v[144:145], v[152:153]
	v_fma_f64 v[148:149], v[10:11], s[18:19], -v[148:149]
	v_fma_f64 v[152:153], v[8:9], s[22:23], -v[114:115]
	v_fma_f64 v[154:155], s[22:23], v[10:11], v[112:113]
	v_fmac_f64_e32 v[114:115], s[22:23], v[8:9]
	v_fma_f64 v[8:9], v[10:11], s[22:23], -v[112:113]
	v_add_f64 v[10:11], v[106:107], v[110:111]
	v_add_f64 v[106:107], v[106:107], -v[110:111]
	v_add_f64 v[6:7], v[8:9], v[6:7]
	v_add_f64 v[8:9], v[104:105], v[108:109]
	v_add_f64 v[104:105], v[104:105], -v[108:109]
	v_mul_f64 v[108:109], v[106:107], s[28:29]
	v_fma_f64 v[110:111], v[8:9], s[18:19], -v[108:109]
	v_add_f64 v[14:15], v[110:111], v[14:15]
	v_mul_f64 v[110:111], v[104:105], s[28:29]
	v_fmac_f64_e32 v[108:109], s[18:19], v[8:9]
	v_add_f64 v[12:13], v[108:109], v[12:13]
	v_fma_f64 v[108:109], v[10:11], s[18:19], -v[110:111]
	v_add_f64 v[16:17], v[108:109], v[16:17]
	v_mul_f64 v[108:109], v[106:107], s[42:43]
	v_fma_f64 v[112:113], s[18:19], v[10:11], v[110:111]
	v_fma_f64 v[110:111], v[8:9], s[24:25], -v[108:109]
	v_add_f64 v[22:23], v[110:111], v[22:23]
	v_mul_f64 v[110:111], v[104:105], s[42:43]
	v_fmac_f64_e32 v[108:109], s[24:25], v[8:9]
	v_add_f64 v[20:21], v[108:109], v[20:21]
	v_fma_f64 v[108:109], v[10:11], s[24:25], -v[110:111]
	v_add_f64 v[24:25], v[108:109], v[24:25]
	v_mul_f64 v[108:109], v[106:107], s[50:51]
	v_add_f64 v[18:19], v[112:113], v[18:19]
	v_fma_f64 v[112:113], s[24:25], v[10:11], v[110:111]
	v_fma_f64 v[110:111], v[8:9], s[16:17], -v[108:109]
	v_add_f64 v[70:71], v[110:111], v[70:71]
	v_mul_f64 v[110:111], v[104:105], s[50:51]
	v_fmac_f64_e32 v[108:109], s[16:17], v[8:9]
	v_add_f64 v[26:27], v[112:113], v[26:27]
	v_fma_f64 v[112:113], s[16:17], v[10:11], v[110:111]
	v_add_f64 v[68:69], v[108:109], v[68:69]
	v_fma_f64 v[108:109], v[10:11], s[16:17], -v[110:111]
	v_mul_f64 v[110:111], v[106:107], s[46:47]
	v_add_f64 v[4:5], v[114:115], v[4:5]
	v_add_f64 v[108:109], v[108:109], v[116:117]
	v_fma_f64 v[114:115], v[8:9], s[0:1], -v[110:111]
	v_mul_f64 v[116:117], v[104:105], s[46:47]
	v_fmac_f64_e32 v[110:111], s[0:1], v[8:9]
	v_add_f64 v[112:113], v[112:113], v[120:121]
	v_fma_f64 v[120:121], s[0:1], v[10:11], v[116:117]
	v_add_f64 v[110:111], v[110:111], v[118:119]
	v_fma_f64 v[116:117], v[10:11], s[0:1], -v[116:117]
	v_mul_f64 v[118:119], v[106:107], s[36:37]
	v_add_f64 v[114:115], v[114:115], v[122:123]
	v_add_f64 v[116:117], v[116:117], v[124:125]
	v_fma_f64 v[122:123], v[8:9], s[10:11], -v[118:119]
	;; [unrolled: 10-line block ×3, first 2 shown]
	v_mul_f64 v[132:133], v[104:105], s[40:41]
	v_fmac_f64_e32 v[126:127], s[22:23], v[8:9]
	s_mov_b32 s57, 0x3fe9895b
	s_mov_b32 s56, s38
	v_add_f64 v[128:129], v[128:129], v[134:135]
	v_fma_f64 v[134:135], s[22:23], v[10:11], v[132:133]
	v_add_f64 v[126:127], v[126:127], v[136:137]
	v_fma_f64 v[132:133], v[10:11], s[22:23], -v[132:133]
	v_mul_f64 v[136:137], v[106:107], s[56:57]
	v_add_f64 v[130:131], v[130:131], v[138:139]
	v_add_f64 v[132:133], v[132:133], v[140:141]
	v_fma_f64 v[138:139], v[8:9], s[20:21], -v[136:137]
	v_mul_f64 v[140:141], v[104:105], s[56:57]
	v_fmac_f64_e32 v[136:137], s[20:21], v[8:9]
	v_mul_f64 v[106:107], v[106:107], s[52:53]
	v_mul_f64 v[104:105], v[104:105], s[52:53]
	v_add_f64 v[134:135], v[134:135], v[142:143]
	v_add_f64 v[138:139], v[138:139], v[146:147]
	v_fma_f64 v[142:143], s[20:21], v[10:11], v[140:141]
	v_add_f64 v[136:137], v[136:137], v[144:145]
	v_fma_f64 v[140:141], v[10:11], s[20:21], -v[140:141]
	v_fma_f64 v[144:145], v[8:9], s[14:15], -v[106:107]
	v_fma_f64 v[146:147], s[14:15], v[10:11], v[104:105]
	v_fmac_f64_e32 v[106:107], s[14:15], v[8:9]
	v_fma_f64 v[8:9], v[10:11], s[14:15], -v[104:105]
	v_add_f64 v[10:11], v[98:99], v[102:103]
	v_add_f64 v[98:99], v[98:99], -v[102:103]
	v_add_f64 v[6:7], v[8:9], v[6:7]
	v_add_f64 v[8:9], v[96:97], v[100:101]
	v_add_f64 v[96:97], v[96:97], -v[100:101]
	v_mul_f64 v[100:101], v[98:99], s[34:35]
	v_fma_f64 v[102:103], v[8:9], s[16:17], -v[100:101]
	v_add_f64 v[14:15], v[102:103], v[14:15]
	v_mul_f64 v[102:103], v[96:97], s[34:35]
	v_fmac_f64_e32 v[100:101], s[16:17], v[8:9]
	v_add_f64 v[12:13], v[100:101], v[12:13]
	v_fma_f64 v[100:101], v[10:11], s[16:17], -v[102:103]
	v_add_f64 v[16:17], v[100:101], v[16:17]
	v_mul_f64 v[100:101], v[98:99], s[48:49]
	v_fma_f64 v[104:105], s[16:17], v[10:11], v[102:103]
	v_fma_f64 v[102:103], v[8:9], s[22:23], -v[100:101]
	v_add_f64 v[22:23], v[102:103], v[22:23]
	v_mul_f64 v[102:103], v[96:97], s[48:49]
	v_fmac_f64_e32 v[100:101], s[22:23], v[8:9]
	v_add_f64 v[20:21], v[100:101], v[20:21]
	v_fma_f64 v[100:101], v[10:11], s[22:23], -v[102:103]
	v_add_f64 v[24:25], v[100:101], v[24:25]
	v_mul_f64 v[100:101], v[98:99], s[52:53]
	v_add_f64 v[18:19], v[104:105], v[18:19]
	v_fma_f64 v[104:105], s[22:23], v[10:11], v[102:103]
	v_fma_f64 v[102:103], v[8:9], s[14:15], -v[100:101]
	v_add_f64 v[70:71], v[102:103], v[70:71]
	v_mul_f64 v[102:103], v[96:97], s[52:53]
	v_fmac_f64_e32 v[100:101], s[14:15], v[8:9]
	v_add_f64 v[26:27], v[104:105], v[26:27]
	v_fma_f64 v[104:105], s[14:15], v[10:11], v[102:103]
	v_add_f64 v[68:69], v[100:101], v[68:69]
	v_fma_f64 v[100:101], v[10:11], s[14:15], -v[102:103]
	v_mul_f64 v[102:103], v[98:99], s[36:37]
	v_add_f64 v[4:5], v[106:107], v[4:5]
	v_add_f64 v[100:101], v[100:101], v[108:109]
	v_fma_f64 v[106:107], v[8:9], s[10:11], -v[102:103]
	v_mul_f64 v[108:109], v[96:97], s[36:37]
	v_fmac_f64_e32 v[102:103], s[10:11], v[8:9]
	v_add_f64 v[104:105], v[104:105], v[112:113]
	v_fma_f64 v[112:113], s[10:11], v[10:11], v[108:109]
	v_add_f64 v[102:103], v[102:103], v[110:111]
	v_fma_f64 v[108:109], v[10:11], s[10:11], -v[108:109]
	v_mul_f64 v[110:111], v[98:99], s[42:43]
	v_add_f64 v[106:107], v[106:107], v[114:115]
	v_add_f64 v[108:109], v[108:109], v[116:117]
	v_fma_f64 v[114:115], v[8:9], s[24:25], -v[110:111]
	v_mul_f64 v[116:117], v[96:97], s[42:43]
	v_fmac_f64_e32 v[110:111], s[24:25], v[8:9]
	s_mov_b32 s59, 0x3fefdd0d
	s_mov_b32 s58, s28
	v_add_f64 v[112:113], v[112:113], v[120:121]
	v_fma_f64 v[120:121], s[24:25], v[10:11], v[116:117]
	v_add_f64 v[110:111], v[110:111], v[118:119]
	v_fma_f64 v[116:117], v[10:11], s[24:25], -v[116:117]
	v_mul_f64 v[118:119], v[98:99], s[58:59]
	v_add_f64 v[114:115], v[114:115], v[122:123]
	v_add_f64 v[116:117], v[116:117], v[124:125]
	v_fma_f64 v[122:123], v[8:9], s[18:19], -v[118:119]
	v_mul_f64 v[124:125], v[96:97], s[58:59]
	v_fmac_f64_e32 v[118:119], s[18:19], v[8:9]
	v_add_f64 v[120:121], v[120:121], v[128:129]
	v_fma_f64 v[128:129], s[18:19], v[10:11], v[124:125]
	v_add_f64 v[118:119], v[118:119], v[126:127]
	v_fma_f64 v[124:125], v[10:11], s[18:19], -v[124:125]
	v_mul_f64 v[126:127], v[98:99], s[26:27]
	v_add_f64 v[122:123], v[122:123], v[130:131]
	v_add_f64 v[124:125], v[124:125], v[132:133]
	v_fma_f64 v[130:131], v[8:9], s[0:1], -v[126:127]
	v_mul_f64 v[132:133], v[96:97], s[26:27]
	v_fmac_f64_e32 v[126:127], s[0:1], v[8:9]
	v_mul_f64 v[98:99], v[98:99], s[38:39]
	v_mul_f64 v[96:97], v[96:97], s[38:39]
	v_add_f64 v[128:129], v[128:129], v[134:135]
	v_add_f64 v[130:131], v[130:131], v[138:139]
	v_fma_f64 v[134:135], s[0:1], v[10:11], v[132:133]
	v_add_f64 v[126:127], v[126:127], v[136:137]
	v_fma_f64 v[132:133], v[10:11], s[0:1], -v[132:133]
	v_fma_f64 v[136:137], v[8:9], s[20:21], -v[98:99]
	v_fma_f64 v[138:139], s[20:21], v[10:11], v[96:97]
	v_fmac_f64_e32 v[98:99], s[20:21], v[8:9]
	v_fma_f64 v[8:9], v[10:11], s[20:21], -v[96:97]
	v_add_f64 v[10:11], v[90:91], v[94:95]
	v_add_f64 v[90:91], v[90:91], -v[94:95]
	v_add_f64 v[6:7], v[8:9], v[6:7]
	v_add_f64 v[8:9], v[88:89], v[92:93]
	v_add_f64 v[88:89], v[88:89], -v[92:93]
	v_mul_f64 v[92:93], v[90:91], s[38:39]
	v_fma_f64 v[94:95], v[8:9], s[20:21], -v[92:93]
	v_add_f64 v[14:15], v[94:95], v[14:15]
	v_mul_f64 v[94:95], v[88:89], s[38:39]
	v_fmac_f64_e32 v[92:93], s[20:21], v[8:9]
	v_add_f64 v[12:13], v[92:93], v[12:13]
	v_fma_f64 v[92:93], v[10:11], s[20:21], -v[94:95]
	v_add_f64 v[16:17], v[92:93], v[16:17]
	v_mul_f64 v[92:93], v[90:91], s[50:51]
	v_fma_f64 v[96:97], s[20:21], v[10:11], v[94:95]
	v_fma_f64 v[94:95], v[8:9], s[16:17], -v[92:93]
	v_add_f64 v[22:23], v[94:95], v[22:23]
	v_mul_f64 v[94:95], v[88:89], s[50:51]
	v_fmac_f64_e32 v[92:93], s[16:17], v[8:9]
	v_add_f64 v[20:21], v[92:93], v[20:21]
	v_fma_f64 v[92:93], v[10:11], s[16:17], -v[94:95]
	v_add_f64 v[24:25], v[92:93], v[24:25]
	v_mul_f64 v[92:93], v[90:91], s[26:27]
	v_add_f64 v[18:19], v[96:97], v[18:19]
	v_fma_f64 v[96:97], s[16:17], v[10:11], v[94:95]
	v_fma_f64 v[94:95], v[8:9], s[0:1], -v[92:93]
	v_add_f64 v[70:71], v[94:95], v[70:71]
	v_mul_f64 v[94:95], v[88:89], s[26:27]
	v_fmac_f64_e32 v[92:93], s[0:1], v[8:9]
	v_add_f64 v[26:27], v[96:97], v[26:27]
	v_fma_f64 v[96:97], s[0:1], v[10:11], v[94:95]
	v_add_f64 v[68:69], v[92:93], v[68:69]
	v_fma_f64 v[92:93], v[10:11], s[0:1], -v[94:95]
	v_mul_f64 v[94:95], v[90:91], s[40:41]
	v_add_f64 v[4:5], v[98:99], v[4:5]
	v_add_f64 v[92:93], v[92:93], v[100:101]
	v_fma_f64 v[98:99], v[8:9], s[22:23], -v[94:95]
	v_mul_f64 v[100:101], v[88:89], s[40:41]
	v_fmac_f64_e32 v[94:95], s[22:23], v[8:9]
	v_add_f64 v[96:97], v[96:97], v[104:105]
	v_fma_f64 v[104:105], s[22:23], v[10:11], v[100:101]
	v_add_f64 v[94:95], v[94:95], v[102:103]
	v_fma_f64 v[100:101], v[10:11], s[22:23], -v[100:101]
	v_mul_f64 v[102:103], v[90:91], s[58:59]
	v_add_f64 v[98:99], v[98:99], v[106:107]
	v_add_f64 v[100:101], v[100:101], v[108:109]
	v_fma_f64 v[106:107], v[8:9], s[18:19], -v[102:103]
	;; [unrolled: 10-line block ×4, first 2 shown]
	v_mul_f64 v[124:125], v[88:89], s[42:43]
	v_fmac_f64_e32 v[118:119], s[24:25], v[8:9]
	v_mul_f64 v[90:91], v[90:91], s[44:45]
	v_mul_f64 v[88:89], v[88:89], s[44:45]
	v_add_f64 v[120:121], v[120:121], v[128:129]
	v_add_f64 v[122:123], v[122:123], v[130:131]
	v_fma_f64 v[128:129], s[24:25], v[10:11], v[124:125]
	v_add_f64 v[118:119], v[118:119], v[126:127]
	v_fma_f64 v[124:125], v[10:11], s[24:25], -v[124:125]
	v_fma_f64 v[126:127], v[8:9], s[10:11], -v[90:91]
	v_fma_f64 v[130:131], s[10:11], v[10:11], v[88:89]
	v_fmac_f64_e32 v[90:91], s[10:11], v[8:9]
	v_fma_f64 v[8:9], v[10:11], s[10:11], -v[88:89]
	v_add_f64 v[10:11], v[82:83], v[86:87]
	v_add_f64 v[82:83], v[82:83], -v[86:87]
	v_add_f64 v[6:7], v[8:9], v[6:7]
	v_add_f64 v[8:9], v[80:81], v[84:85]
	v_add_f64 v[80:81], v[80:81], -v[84:85]
	v_mul_f64 v[84:85], v[82:83], s[40:41]
	v_fma_f64 v[86:87], v[8:9], s[22:23], -v[84:85]
	v_add_f64 v[14:15], v[86:87], v[14:15]
	v_mul_f64 v[86:87], v[80:81], s[40:41]
	v_fmac_f64_e32 v[84:85], s[22:23], v[8:9]
	v_add_f64 v[12:13], v[84:85], v[12:13]
	v_fma_f64 v[84:85], v[10:11], s[22:23], -v[86:87]
	v_add_f64 v[16:17], v[84:85], v[16:17]
	v_mul_f64 v[84:85], v[82:83], s[44:45]
	v_fma_f64 v[88:89], s[22:23], v[10:11], v[86:87]
	v_fma_f64 v[86:87], v[8:9], s[10:11], -v[84:85]
	v_add_f64 v[22:23], v[86:87], v[22:23]
	v_mul_f64 v[86:87], v[80:81], s[44:45]
	v_fmac_f64_e32 v[84:85], s[10:11], v[8:9]
	v_add_f64 v[20:21], v[84:85], v[20:21]
	v_fma_f64 v[84:85], v[10:11], s[10:11], -v[86:87]
	v_add_f64 v[24:25], v[84:85], v[24:25]
	v_mul_f64 v[84:85], v[82:83], s[28:29]
	v_add_f64 v[18:19], v[88:89], v[18:19]
	v_fma_f64 v[88:89], s[10:11], v[10:11], v[86:87]
	v_fma_f64 v[86:87], v[8:9], s[18:19], -v[84:85]
	v_add_f64 v[156:157], v[156:157], v[166:167]
	v_add_f64 v[70:71], v[86:87], v[70:71]
	v_mul_f64 v[86:87], v[80:81], s[28:29]
	v_fmac_f64_e32 v[84:85], s[18:19], v[8:9]
	v_add_f64 v[162:163], v[162:163], v[170:171]
	v_add_f64 v[148:149], v[148:149], v[156:157]
	v_add_f64 v[68:69], v[84:85], v[68:69]
	v_fma_f64 v[84:85], v[10:11], s[18:19], -v[86:87]
	v_add_f64 v[152:153], v[152:153], v[162:163]
	v_add_f64 v[140:141], v[140:141], v[148:149]
	v_add_f64 v[4:5], v[90:91], v[4:5]
	v_add_f64 v[90:91], v[84:85], v[92:93]
	v_mul_f64 v[84:85], v[82:83], s[56:57]
	v_add_f64 v[144:145], v[144:145], v[152:153]
	v_add_f64 v[132:133], v[132:133], v[140:141]
	;; [unrolled: 1-line block ×3, first 2 shown]
	v_fma_f64 v[88:89], s[18:19], v[10:11], v[86:87]
	v_fma_f64 v[86:87], v[8:9], s[20:21], -v[84:85]
	v_add_f64 v[164:165], v[164:165], v[172:173]
	v_add_f64 v[136:137], v[136:137], v[144:145]
	;; [unrolled: 1-line block ×4, first 2 shown]
	v_mul_f64 v[86:87], v[80:81], s[56:57]
	v_fmac_f64_e32 v[84:85], s[20:21], v[8:9]
	v_add_f64 v[154:155], v[154:155], v[164:165]
	v_add_f64 v[126:127], v[126:127], v[136:137]
	;; [unrolled: 1-line block ×3, first 2 shown]
	v_fma_f64 v[84:85], v[10:11], s[20:21], -v[86:87]
	v_add_f64 v[146:147], v[146:147], v[154:155]
	v_add_f64 v[100:101], v[84:85], v[100:101]
	v_mul_f64 v[84:85], v[82:83], s[26:27]
	v_add_f64 v[158:159], v[158:159], v[168:169]
	v_add_f64 v[138:139], v[138:139], v[146:147]
	v_fma_f64 v[92:93], s[20:21], v[10:11], v[86:87]
	v_fma_f64 v[86:87], v[8:9], s[0:1], -v[84:85]
	v_add_f64 v[150:151], v[150:151], v[158:159]
	v_add_f64 v[130:131], v[130:131], v[138:139]
	;; [unrolled: 1-line block ×3, first 2 shown]
	v_mul_f64 v[86:87], v[80:81], s[26:27]
	v_fmac_f64_e32 v[84:85], s[0:1], v[8:9]
	v_add_f64 v[142:143], v[142:143], v[150:151]
	v_add_f64 v[102:103], v[84:85], v[102:103]
	v_fma_f64 v[84:85], v[10:11], s[0:1], -v[86:87]
	v_add_f64 v[134:135], v[134:135], v[142:143]
	v_add_f64 v[108:109], v[84:85], v[108:109]
	v_mul_f64 v[84:85], v[82:83], s[42:43]
	v_add_f64 v[128:129], v[128:129], v[134:135]
	v_add_f64 v[134:135], v[92:93], v[104:105]
	v_fma_f64 v[92:93], s[0:1], v[10:11], v[86:87]
	v_fma_f64 v[86:87], v[8:9], s[24:25], -v[84:85]
	v_add_f64 v[142:143], v[86:87], v[114:115]
	v_mul_f64 v[86:87], v[80:81], s[42:43]
	v_fmac_f64_e32 v[84:85], s[24:25], v[8:9]
	v_add_f64 v[110:111], v[84:85], v[110:111]
	v_fma_f64 v[84:85], v[10:11], s[24:25], -v[86:87]
	v_add_f64 v[144:145], v[84:85], v[116:117]
	v_mul_f64 v[84:85], v[82:83], s[52:53]
	v_add_f64 v[140:141], v[92:93], v[112:113]
	v_fma_f64 v[92:93], s[24:25], v[10:11], v[86:87]
	v_fma_f64 v[86:87], v[8:9], s[14:15], -v[84:85]
	v_add_f64 v[122:123], v[86:87], v[122:123]
	v_mul_f64 v[86:87], v[80:81], s[52:53]
	v_fmac_f64_e32 v[84:85], s[14:15], v[8:9]
	v_add_f64 v[146:147], v[84:85], v[118:119]
	v_fma_f64 v[84:85], v[10:11], s[14:15], -v[86:87]
	v_mul_f64 v[82:83], v[82:83], s[34:35]
	v_mul_f64 v[80:81], v[80:81], s[34:35]
	v_add_f64 v[148:149], v[84:85], v[124:125]
	v_fma_f64 v[84:85], v[8:9], s[16:17], -v[82:83]
	v_fmac_f64_e32 v[82:83], s[16:17], v[8:9]
	v_fma_f64 v[8:9], v[10:11], s[16:17], -v[80:81]
	v_add_f64 v[154:155], v[74:75], -v[78:79]
	v_add_f64 v[6:7], v[8:9], v[6:7]
	v_add_f64 v[8:9], v[72:73], v[76:77]
	v_add_f64 v[152:153], v[72:73], -v[76:77]
	v_mul_f64 v[72:73], v[154:155], s[42:43]
	v_add_f64 v[120:121], v[92:93], v[120:121]
	v_fma_f64 v[92:93], s[14:15], v[10:11], v[86:87]
	v_add_f64 v[150:151], v[84:85], v[126:127]
	v_fma_f64 v[84:85], s[16:17], v[10:11], v[80:81]
	v_add_f64 v[10:11], v[74:75], v[78:79]
	v_fma_f64 v[74:75], v[8:9], s[24:25], -v[72:73]
	v_add_f64 v[130:131], v[84:85], v[130:131]
	v_add_f64 v[84:85], v[74:75], v[14:15]
	v_mul_f64 v[14:15], v[152:153], s[42:43]
	v_fmac_f64_e32 v[72:73], s[24:25], v[8:9]
	v_fma_f64 v[74:75], s[24:25], v[10:11], v[14:15]
	v_add_f64 v[72:73], v[72:73], v[12:13]
	v_fma_f64 v[12:13], v[10:11], s[24:25], -v[14:15]
	v_add_f64 v[86:87], v[74:75], v[18:19]
	v_add_f64 v[74:75], v[12:13], v[16:17]
	v_mul_f64 v[12:13], v[154:155], s[46:47]
	v_fma_f64 v[14:15], v[8:9], s[0:1], -v[12:13]
	v_add_f64 v[128:129], v[92:93], v[128:129]
	v_add_f64 v[92:93], v[14:15], v[22:23]
	v_mul_f64 v[14:15], v[152:153], s[46:47]
	v_fmac_f64_e32 v[12:13], s[0:1], v[8:9]
	v_add_f64 v[76:77], v[12:13], v[20:21]
	v_fma_f64 v[12:13], v[10:11], s[0:1], -v[14:15]
	v_add_f64 v[78:79], v[12:13], v[24:25]
	v_mul_f64 v[12:13], v[154:155], s[40:41]
	v_fma_f64 v[16:17], s[0:1], v[10:11], v[14:15]
	v_fma_f64 v[14:15], v[8:9], s[22:23], -v[12:13]
	v_add_f64 v[88:89], v[88:89], v[96:97]
	v_add_f64 v[96:97], v[14:15], v[70:71]
	v_mul_f64 v[14:15], v[152:153], s[40:41]
	v_fmac_f64_e32 v[12:13], s[22:23], v[8:9]
	v_add_f64 v[80:81], v[12:13], v[68:69]
	v_fma_f64 v[12:13], v[10:11], s[22:23], -v[14:15]
	v_add_f64 v[4:5], v[82:83], v[4:5]
	v_add_f64 v[82:83], v[12:13], v[90:91]
	v_mul_f64 v[12:13], v[154:155], s[52:53]
	v_add_f64 v[94:95], v[16:17], v[26:27]
	v_fma_f64 v[16:17], s[22:23], v[10:11], v[14:15]
	v_fma_f64 v[14:15], v[8:9], s[14:15], -v[12:13]
	v_add_f64 v[104:105], v[14:15], v[132:133]
	v_mul_f64 v[14:15], v[152:153], s[52:53]
	v_fmac_f64_e32 v[12:13], s[14:15], v[8:9]
	v_add_f64 v[98:99], v[16:17], v[88:89]
	v_add_f64 v[88:89], v[12:13], v[136:137]
	v_fma_f64 v[12:13], v[10:11], s[14:15], -v[14:15]
	v_add_f64 v[90:91], v[12:13], v[100:101]
	v_mul_f64 v[12:13], v[154:155], s[38:39]
	v_fma_f64 v[16:17], s[14:15], v[10:11], v[14:15]
	v_fma_f64 v[14:15], v[8:9], s[20:21], -v[12:13]
	v_add_f64 v[112:113], v[14:15], v[138:139]
	v_mul_f64 v[14:15], v[152:153], s[38:39]
	v_fmac_f64_e32 v[12:13], s[20:21], v[8:9]
	v_add_f64 v[100:101], v[12:13], v[102:103]
	v_fma_f64 v[12:13], v[10:11], s[20:21], -v[14:15]
	v_add_f64 v[102:103], v[12:13], v[108:109]
	v_mul_f64 v[12:13], v[154:155], s[44:45]
	v_add_f64 v[106:107], v[16:17], v[134:135]
	v_fma_f64 v[16:17], s[20:21], v[10:11], v[14:15]
	v_fma_f64 v[14:15], v[8:9], s[10:11], -v[12:13]
	v_add_f64 v[116:117], v[14:15], v[142:143]
	v_mul_f64 v[14:15], v[152:153], s[44:45]
	v_fmac_f64_e32 v[12:13], s[10:11], v[8:9]
	v_add_f64 v[108:109], v[12:13], v[110:111]
	v_fma_f64 v[12:13], v[10:11], s[10:11], -v[14:15]
	v_add_f64 v[110:111], v[12:13], v[144:145]
	v_mul_f64 v[12:13], v[154:155], s[34:35]
	v_add_f64 v[114:115], v[16:17], v[140:141]
	v_fma_f64 v[16:17], s[10:11], v[10:11], v[14:15]
	v_fma_f64 v[14:15], v[8:9], s[16:17], -v[12:13]
	v_add_f64 v[124:125], v[14:15], v[122:123]
	v_mul_f64 v[14:15], v[152:153], s[34:35]
	v_fmac_f64_e32 v[12:13], s[16:17], v[8:9]
	v_add_f64 v[118:119], v[16:17], v[120:121]
	v_add_f64 v[120:121], v[12:13], v[146:147]
	v_fma_f64 v[12:13], v[10:11], s[16:17], -v[14:15]
	v_add_f64 v[122:123], v[12:13], v[148:149]
	v_mul_f64 v[12:13], v[154:155], s[58:59]
	v_fma_f64 v[16:17], s[16:17], v[10:11], v[14:15]
	v_fma_f64 v[14:15], v[8:9], s[18:19], -v[12:13]
	v_add_f64 v[126:127], v[16:17], v[128:129]
	v_add_f64 v[128:129], v[14:15], v[150:151]
	v_mul_f64 v[14:15], v[152:153], s[58:59]
	v_fmac_f64_e32 v[12:13], s[18:19], v[8:9]
	v_add_f64 v[132:133], v[12:13], v[4:5]
	v_fma_f64 v[4:5], v[10:11], s[18:19], -v[14:15]
	v_add_f64 v[238:239], v[30:31], -v[66:67]
	v_add_f64 v[134:135], v[4:5], v[6:7]
	v_mul_f64 v[4:5], v[238:239], s[26:27]
	v_add_f64 v[158:159], v[28:29], v[64:65]
	v_add_f64 v[234:235], v[28:29], -v[64:65]
	v_accvgpr_write_b32 a127, v5
	v_add_f64 v[164:165], v[30:31], v[66:67]
	v_mul_f64 v[6:7], v[234:235], s[26:27]
	v_accvgpr_write_b32 a126, v4
	v_fma_f64 v[4:5], s[0:1], v[158:159], v[4:5]
	v_add_f64 v[8:9], v[0:1], v[4:5]
	v_fma_f64 v[4:5], v[164:165], s[0:1], -v[6:7]
	v_fma_f64 v[16:17], s[18:19], v[10:11], v[14:15]
	v_add_f64 v[10:11], v[2:3], v[4:5]
	v_mul_f64 v[4:5], v[238:239], s[30:31]
	v_mul_f64 v[12:13], v[234:235], s[30:31]
	v_accvgpr_write_b32 a131, v5
	v_accvgpr_write_b32 a129, v7
	;; [unrolled: 1-line block ×3, first 2 shown]
	v_fma_f64 v[4:5], s[14:15], v[158:159], v[4:5]
	v_accvgpr_write_b32 a135, v13
	v_add_f64 v[250:251], v[34:35], -v[62:63]
	v_accvgpr_write_b32 a128, v6
	v_add_f64 v[6:7], v[0:1], v[4:5]
	v_accvgpr_write_b32 a134, v12
	v_fma_f64 v[4:5], v[164:165], s[14:15], -v[12:13]
	v_mul_f64 v[12:13], v[250:251], s[30:31]
	v_add_f64 v[170:171], v[32:33], v[60:61]
	v_add_f64 v[240:241], v[32:33], -v[60:61]
	v_accvgpr_write_b32 a133, v13
	v_add_f64 v[172:173], v[34:35], v[62:63]
	v_mul_f64 v[14:15], v[240:241], s[30:31]
	v_accvgpr_write_b32 a132, v12
	v_fma_f64 v[12:13], s[14:15], v[170:171], v[12:13]
	v_add_f64 v[8:9], v[12:13], v[8:9]
	v_fma_f64 v[12:13], v[172:173], s[14:15], -v[14:15]
	v_add_f64 v[146:147], v[180:181], -v[58:59]
	v_add_f64 v[10:11], v[12:13], v[10:11]
	v_mul_f64 v[12:13], v[146:147], s[36:37]
	v_accvgpr_write_b32 a137, v15
	v_add_f64 v[174:175], v[178:179], v[56:57]
	v_add_f64 v[252:253], v[178:179], -v[56:57]
	v_accvgpr_write_b32 a141, v13
	v_accvgpr_write_b32 a136, v14
	v_add_f64 v[176:177], v[180:181], v[58:59]
	v_mul_f64 v[14:15], v[252:253], s[36:37]
	v_accvgpr_write_b32 a140, v12
	v_fma_f64 v[12:13], s[10:11], v[174:175], v[12:13]
	v_add_f64 v[8:9], v[12:13], v[8:9]
	v_fma_f64 v[12:13], v[176:177], s[10:11], -v[14:15]
	v_add_f64 v[166:167], v[188:189], -v[54:55]
	v_add_f64 v[10:11], v[12:13], v[10:11]
	v_mul_f64 v[12:13], v[166:167], s[28:29]
	v_accvgpr_write_b32 a143, v15
	v_add_f64 v[182:183], v[186:187], v[52:53]
	v_add_f64 v[148:149], v[186:187], -v[52:53]
	v_accvgpr_write_b32 a145, v13
	v_accvgpr_write_b32 a142, v14
	v_add_f64 v[184:185], v[188:189], v[54:55]
	v_mul_f64 v[14:15], v[148:149], s[28:29]
	v_accvgpr_write_b32 a144, v12
	v_fma_f64 v[12:13], s[18:19], v[182:183], v[12:13]
	v_add_f64 v[8:9], v[12:13], v[8:9]
	v_fma_f64 v[12:13], v[184:185], s[18:19], -v[14:15]
	v_add_f64 v[200:201], v[194:195], -v[50:51]
	v_accvgpr_write_b32 a70, v178
	v_accvgpr_write_b32 a102, v186
	v_add_f64 v[10:11], v[12:13], v[10:11]
	v_mul_f64 v[12:13], v[200:201], s[34:35]
	v_accvgpr_write_b32 a71, v179
	v_accvgpr_write_b32 a72, v180
	;; [unrolled: 1-line block ×7, first 2 shown]
	v_add_f64 v[188:189], v[192:193], v[48:49]
	v_add_f64 v[178:179], v[192:193], -v[48:49]
	v_accvgpr_write_b32 a149, v13
	v_accvgpr_write_b32 a146, v14
	v_add_f64 v[190:191], v[194:195], v[50:51]
	v_mul_f64 v[14:15], v[178:179], s[34:35]
	v_accvgpr_write_b32 a148, v12
	v_fma_f64 v[12:13], s[16:17], v[188:189], v[12:13]
	v_add_f64 v[8:9], v[12:13], v[8:9]
	v_fma_f64 v[12:13], v[190:191], s[16:17], -v[14:15]
	v_add_f64 v[230:231], v[204:205], -v[46:47]
	v_accvgpr_write_b32 a106, v192
	v_add_f64 v[10:11], v[12:13], v[10:11]
	v_mul_f64 v[12:13], v[230:231], s[38:39]
	v_accvgpr_write_b32 a107, v193
	v_accvgpr_write_b32 a108, v194
	;; [unrolled: 1-line block ×4, first 2 shown]
	v_add_f64 v[194:195], v[202:203], v[44:45]
	v_add_f64 v[220:221], v[202:203], -v[44:45]
	v_accvgpr_write_b32 a153, v13
	v_accvgpr_write_b32 a150, v14
	v_add_f64 v[196:197], v[204:205], v[46:47]
	v_mul_f64 v[14:15], v[220:221], s[38:39]
	v_accvgpr_write_b32 a152, v12
	v_fma_f64 v[12:13], s[20:21], v[194:195], v[12:13]
	v_add_f64 v[8:9], v[12:13], v[8:9]
	v_fma_f64 v[12:13], v[196:197], s[20:21], -v[14:15]
	v_add_f64 v[68:69], v[208:209], -v[42:43]
	v_accvgpr_write_b32 a110, v202
	v_add_f64 v[10:11], v[12:13], v[10:11]
	v_mul_f64 v[12:13], v[68:69], s[40:41]
	v_accvgpr_write_b32 a111, v203
	v_accvgpr_write_b32 a112, v204
	;; [unrolled: 1-line block ×4, first 2 shown]
	v_add_f64 v[202:203], v[206:207], v[40:41]
	v_add_f64 v[244:245], v[206:207], -v[40:41]
	v_accvgpr_write_b32 a157, v13
	v_accvgpr_write_b32 a154, v14
	v_add_f64 v[204:205], v[208:209], v[42:43]
	v_mul_f64 v[14:15], v[244:245], s[40:41]
	v_accvgpr_write_b32 a156, v12
	v_fma_f64 v[12:13], s[22:23], v[202:203], v[12:13]
	v_add_f64 v[8:9], v[12:13], v[8:9]
	v_fma_f64 v[12:13], v[204:205], s[22:23], -v[14:15]
	v_add_f64 v[154:155], v[224:225], -v[38:39]
	v_add_f64 v[10:11], v[12:13], v[10:11]
	v_mul_f64 v[12:13], v[154:155], s[42:43]
	v_accvgpr_write_b32 a159, v15
	v_add_f64 v[212:213], v[222:223], v[36:37]
	v_add_f64 v[162:163], v[222:223], -v[36:37]
	v_accvgpr_write_b32 a161, v13
	v_accvgpr_write_b32 a158, v14
	v_add_f64 v[216:217], v[224:225], v[38:39]
	v_mul_f64 v[14:15], v[162:163], s[42:43]
	v_accvgpr_write_b32 a160, v12
	v_fma_f64 v[12:13], s[24:25], v[212:213], v[12:13]
	v_add_f64 v[130:131], v[16:17], v[130:131]
	v_mul_f64 v[16:17], v[250:251], s[28:29]
	v_add_f64 v[12:13], v[12:13], v[8:9]
	v_accvgpr_write_b32 a163, v15
	v_fma_f64 v[8:9], v[216:217], s[24:25], -v[14:15]
	v_accvgpr_write_b32 a162, v14
	v_add_f64 v[14:15], v[8:9], v[10:11]
	v_mul_f64 v[10:11], v[240:241], s[28:29]
	v_fma_f64 v[8:9], s[18:19], v[170:171], v[16:17]
	v_add_f64 v[4:5], v[2:3], v[4:5]
	v_add_f64 v[6:7], v[8:9], v[6:7]
	v_fma_f64 v[8:9], v[172:173], s[18:19], -v[10:11]
	v_add_f64 v[4:5], v[8:9], v[4:5]
	v_mul_f64 v[8:9], v[146:147], s[38:39]
	v_accvgpr_write_b32 a165, v9
	v_accvgpr_write_b32 a164, v8
	v_fma_f64 v[8:9], s[20:21], v[174:175], v[8:9]
	v_add_f64 v[6:7], v[8:9], v[6:7]
	v_mul_f64 v[8:9], v[252:253], s[38:39]
	v_accvgpr_write_b32 a173, v9
	v_accvgpr_write_b32 a172, v8
	v_fma_f64 v[8:9], v[176:177], s[20:21], -v[8:9]
	v_add_f64 v[4:5], v[8:9], v[4:5]
	v_mul_f64 v[8:9], v[166:167], s[42:43]
	v_accvgpr_write_b32 a169, v9
	v_accvgpr_write_b32 a168, v8
	v_fma_f64 v[8:9], s[24:25], v[182:183], v[8:9]
	v_add_f64 v[6:7], v[8:9], v[6:7]
	v_mul_f64 v[8:9], v[148:149], s[42:43]
	v_accvgpr_write_b32 a177, v9
	v_accvgpr_write_b32 a176, v8
	;; [unrolled: 10-line block ×6, first 2 shown]
	v_accvgpr_write_b32 a188, v6
	v_fma_f64 v[6:7], v[216:217], s[0:1], -v[6:7]
	v_accvgpr_write_b32 a166, v10
	v_add_f64 v[10:11], v[6:7], v[4:5]
	v_mul_f64 v[4:5], v[238:239], s[36:37]
	v_accvgpr_write_b32 a191, v5
	v_mul_f64 v[6:7], v[250:251], s[38:39]
	v_accvgpr_write_b32 a190, v4
	v_fma_f64 v[4:5], s[10:11], v[158:159], v[4:5]
	v_accvgpr_write_b32 a193, v7
	v_add_f64 v[4:5], v[0:1], v[4:5]
	v_accvgpr_write_b32 a192, v6
	v_fma_f64 v[6:7], s[20:21], v[170:171], v[6:7]
	v_accvgpr_write_b32 a81, v11
	v_add_f64 v[4:5], v[6:7], v[4:5]
	v_mul_f64 v[6:7], v[234:235], s[36:37]
	v_accvgpr_write_b32 a80, v10
	v_accvgpr_write_b32 a79, v9
	v_accvgpr_write_b32 a78, v8
	v_accvgpr_write_b32 a207, v7
	v_mul_f64 v[8:9], v[240:241], s[38:39]
	v_accvgpr_write_b32 a206, v6
	v_fma_f64 v[6:7], v[164:165], s[10:11], -v[6:7]
	v_accvgpr_write_b32 a209, v9
	v_add_f64 v[6:7], v[2:3], v[6:7]
	v_accvgpr_write_b32 a208, v8
	v_fma_f64 v[8:9], v[172:173], s[20:21], -v[8:9]
	v_add_f64 v[6:7], v[8:9], v[6:7]
	v_mul_f64 v[8:9], v[146:147], s[54:55]
	v_accvgpr_write_b32 a195, v9
	v_accvgpr_write_b32 a194, v8
	v_fma_f64 v[8:9], s[24:25], v[174:175], v[8:9]
	v_add_f64 v[4:5], v[8:9], v[4:5]
	v_mul_f64 v[8:9], v[252:253], s[54:55]
	v_accvgpr_write_b32 a211, v9
	v_accvgpr_write_b32 a210, v8
	v_fma_f64 v[8:9], v[176:177], s[24:25], -v[8:9]
	v_add_f64 v[6:7], v[8:9], v[6:7]
	v_mul_f64 v[8:9], v[166:167], s[50:51]
	v_accvgpr_write_b32 a197, v9
	v_accvgpr_write_b32 a196, v8
	v_fma_f64 v[8:9], s[16:17], v[182:183], v[8:9]
	v_add_f64 v[4:5], v[8:9], v[4:5]
	v_mul_f64 v[8:9], v[148:149], s[50:51]
	v_accvgpr_write_b32 a213, v9
	;; [unrolled: 10-line block ×6, first 2 shown]
	v_accvgpr_write_b32 a220, v4
	v_fma_f64 v[4:5], v[216:217], s[22:23], -v[4:5]
	v_add_f64 v[10:11], v[4:5], v[6:7]
	v_mul_f64 v[4:5], v[238:239], s[28:29]
	v_accvgpr_write_b32 a223, v5
	v_mul_f64 v[6:7], v[250:251], s[42:43]
	v_accvgpr_write_b32 a222, v4
	v_fma_f64 v[4:5], s[18:19], v[158:159], v[4:5]
	v_accvgpr_write_b32 a225, v7
	v_add_f64 v[4:5], v[0:1], v[4:5]
	v_accvgpr_write_b32 a224, v6
	v_fma_f64 v[6:7], s[24:25], v[170:171], v[6:7]
	v_accvgpr_write_b32 a85, v11
	v_add_f64 v[4:5], v[6:7], v[4:5]
	v_mul_f64 v[6:7], v[234:235], s[28:29]
	v_accvgpr_write_b32 a84, v10
	v_accvgpr_write_b32 a83, v9
	;; [unrolled: 1-line block ×4, first 2 shown]
	v_mul_f64 v[8:9], v[240:241], s[42:43]
	v_accvgpr_write_b32 a230, v6
	v_fma_f64 v[6:7], v[164:165], s[18:19], -v[6:7]
	v_accvgpr_write_b32 a235, v9
	v_add_f64 v[6:7], v[2:3], v[6:7]
	v_accvgpr_write_b32 a234, v8
	v_fma_f64 v[8:9], v[172:173], s[24:25], -v[8:9]
	v_add_f64 v[6:7], v[8:9], v[6:7]
	v_mul_f64 v[8:9], v[146:147], s[50:51]
	v_accvgpr_write_b32 a227, v9
	v_accvgpr_write_b32 a226, v8
	v_fma_f64 v[8:9], s[16:17], v[174:175], v[8:9]
	v_add_f64 v[4:5], v[8:9], v[4:5]
	v_mul_f64 v[8:9], v[252:253], s[50:51]
	v_accvgpr_write_b32 a239, v9
	v_accvgpr_write_b32 a238, v8
	v_fma_f64 v[8:9], v[176:177], s[16:17], -v[8:9]
	v_add_f64 v[6:7], v[8:9], v[6:7]
	v_mul_f64 v[8:9], v[166:167], s[46:47]
	v_accvgpr_write_b32 a229, v9
	v_accvgpr_write_b32 a228, v8
	v_fma_f64 v[8:9], s[0:1], v[182:183], v[8:9]
	v_add_f64 v[4:5], v[8:9], v[4:5]
	v_mul_f64 v[8:9], v[148:149], s[46:47]
	v_accvgpr_write_b32 a243, v9
	;; [unrolled: 10-line block ×6, first 2 shown]
	v_accvgpr_write_b32 a252, v4
	v_fma_f64 v[4:5], v[216:217], s[14:15], -v[4:5]
	v_add_f64 v[10:11], v[4:5], v[6:7]
	v_mul_f64 v[4:5], v[238:239], s[34:35]
	v_accvgpr_write_b32 a255, v5
	v_mul_f64 v[6:7], v[250:251], s[48:49]
	v_accvgpr_write_b32 a254, v4
	v_fma_f64 v[4:5], s[16:17], v[158:159], v[4:5]
	v_accvgpr_write_b32 a0, v6
	v_add_f64 v[4:5], v[0:1], v[4:5]
	v_accvgpr_write_b32 a1, v7
	v_fma_f64 v[6:7], s[22:23], v[170:171], v[6:7]
	v_accvgpr_write_b32 a89, v11
	v_add_f64 v[4:5], v[6:7], v[4:5]
	v_mul_f64 v[6:7], v[234:235], s[34:35]
	v_accvgpr_write_b32 a88, v10
	v_accvgpr_write_b32 a87, v9
	;; [unrolled: 1-line block ×4, first 2 shown]
	v_mul_f64 v[8:9], v[240:241], s[48:49]
	v_accvgpr_write_b32 a38, v6
	v_fma_f64 v[6:7], v[164:165], s[16:17], -v[6:7]
	v_accvgpr_write_b32 a63, v9
	v_add_f64 v[6:7], v[2:3], v[6:7]
	v_accvgpr_write_b32 a62, v8
	v_fma_f64 v[8:9], v[172:173], s[22:23], -v[8:9]
	v_add_f64 v[6:7], v[8:9], v[6:7]
	v_mul_f64 v[8:9], v[146:147], s[52:53]
	v_accvgpr_write_b32 a67, v9
	v_accvgpr_write_b32 a66, v8
	v_fma_f64 v[8:9], s[14:15], v[174:175], v[8:9]
	v_mul_f64 v[150:151], v[252:253], s[52:53]
	v_add_f64 v[4:5], v[8:9], v[4:5]
	v_fma_f64 v[8:9], v[176:177], s[14:15], -v[150:151]
	v_add_f64 v[6:7], v[8:9], v[6:7]
	v_mul_f64 v[8:9], v[166:167], s[36:37]
	v_accvgpr_write_b32 a69, v9
	v_accvgpr_write_b32 a68, v8
	v_fma_f64 v[8:9], s[10:11], v[182:183], v[8:9]
	v_mul_f64 v[156:157], v[148:149], s[36:37]
	v_add_f64 v[4:5], v[8:9], v[4:5]
	;; [unrolled: 8-line block ×3, first 2 shown]
	v_fma_f64 v[8:9], v[190:191], s[24:25], -v[180:181]
	v_mul_f64 v[144:145], v[230:231], s[58:59]
	v_add_f64 v[6:7], v[8:9], v[6:7]
	v_fma_f64 v[8:9], s[18:19], v[194:195], v[144:145]
	v_mul_f64 v[186:187], v[220:221], s[58:59]
	v_add_f64 v[4:5], v[8:9], v[4:5]
	v_fma_f64 v[8:9], v[196:197], s[18:19], -v[186:187]
	v_mul_f64 v[152:153], v[68:69], s[26:27]
	v_add_f64 v[6:7], v[8:9], v[6:7]
	v_fma_f64 v[8:9], s[0:1], v[202:203], v[152:153]
	v_mul_f64 v[70:71], v[244:245], s[26:27]
	v_add_f64 v[4:5], v[8:9], v[4:5]
	v_fma_f64 v[8:9], v[204:205], s[0:1], -v[70:71]
	v_mul_f64 v[168:169], v[154:155], s[38:39]
	v_add_f64 v[6:7], v[8:9], v[6:7]
	v_fma_f64 v[8:9], s[20:21], v[212:213], v[168:169]
	v_mul_f64 v[192:193], v[162:163], s[38:39]
	v_accvgpr_write_b32 a114, v206
	v_add_f64 v[8:9], v[8:9], v[4:5]
	v_fma_f64 v[4:5], v[216:217], s[20:21], -v[192:193]
	v_mul_f64 v[198:199], v[238:239], s[38:39]
	v_accvgpr_write_b32 a115, v207
	v_accvgpr_write_b32 a116, v208
	;; [unrolled: 1-line block ×3, first 2 shown]
	v_add_f64 v[10:11], v[4:5], v[6:7]
	v_fma_f64 v[4:5], s[20:21], v[158:159], v[198:199]
	v_mul_f64 v[206:207], v[250:251], s[50:51]
	v_accvgpr_write_b32 a118, v222
	v_add_f64 v[4:5], v[0:1], v[4:5]
	v_fma_f64 v[6:7], s[16:17], v[170:171], v[206:207]
	v_mul_f64 v[214:215], v[234:235], s[38:39]
	v_accvgpr_write_b32 a119, v223
	v_accvgpr_write_b32 a120, v224
	;; [unrolled: 1-line block ×4, first 2 shown]
	v_add_f64 v[4:5], v[6:7], v[4:5]
	v_fma_f64 v[6:7], v[164:165], s[20:21], -v[214:215]
	v_mul_f64 v[222:223], v[240:241], s[50:51]
	v_accvgpr_write_b32 a92, v10
	v_accvgpr_write_b32 a91, v9
	;; [unrolled: 1-line block ×3, first 2 shown]
	v_add_f64 v[6:7], v[2:3], v[6:7]
	v_fma_f64 v[8:9], v[172:173], s[16:17], -v[222:223]
	v_mul_f64 v[208:209], v[146:147], s[26:27]
	v_add_f64 v[6:7], v[8:9], v[6:7]
	v_fma_f64 v[8:9], s[0:1], v[174:175], v[208:209]
	v_mul_f64 v[226:227], v[252:253], s[26:27]
	v_add_f64 v[4:5], v[8:9], v[4:5]
	v_fma_f64 v[8:9], v[176:177], s[0:1], -v[226:227]
	v_mul_f64 v[210:211], v[166:167], s[40:41]
	v_add_f64 v[6:7], v[8:9], v[6:7]
	v_fma_f64 v[8:9], s[22:23], v[182:183], v[210:211]
	v_mul_f64 v[232:233], v[148:149], s[40:41]
	;; [unrolled: 6-line block ×6, first 2 shown]
	v_add_f64 v[8:9], v[8:9], v[4:5]
	v_fma_f64 v[4:5], v[216:217], s[10:11], -v[254:255]
	v_add_f64 v[10:11], v[4:5], v[6:7]
	v_mul_f64 v[4:5], v[238:239], s[40:41]
	v_accvgpr_write_b32 a97, v11
	v_fma_f64 v[6:7], s[22:23], v[158:159], v[4:5]
	v_accvgpr_write_b32 a96, v10
	v_accvgpr_write_b32 a95, v9
	;; [unrolled: 1-line block ×3, first 2 shown]
	v_add_f64 v[8:9], v[0:1], v[6:7]
	v_mul_f64 v[6:7], v[250:251], s[44:45]
	v_accvgpr_write_b32 a77, v15
	v_fma_f64 v[10:11], s[10:11], v[170:171], v[6:7]
	v_mul_f64 v[136:137], v[234:235], s[40:41]
	v_accvgpr_write_b32 a76, v14
	v_accvgpr_write_b32 a75, v13
	;; [unrolled: 1-line block ×3, first 2 shown]
	v_add_f64 v[10:11], v[10:11], v[8:9]
	v_fma_f64 v[8:9], v[164:165], s[22:23], -v[136:137]
	v_mul_f64 v[14:15], v[240:241], s[44:45]
	v_add_f64 v[8:9], v[2:3], v[8:9]
	v_fma_f64 v[12:13], v[172:173], s[10:11], -v[14:15]
	v_accvgpr_write_b32 a139, v17
	v_add_f64 v[12:13], v[12:13], v[8:9]
	v_mul_f64 v[8:9], v[146:147], s[28:29]
	v_accvgpr_write_b32 a138, v16
	v_fma_f64 v[16:17], s[18:19], v[174:175], v[8:9]
	v_mul_f64 v[18:19], v[252:253], s[28:29]
	v_add_f64 v[16:17], v[16:17], v[10:11]
	v_fma_f64 v[10:11], v[176:177], s[18:19], -v[18:19]
	v_add_f64 v[12:13], v[10:11], v[12:13]
	v_mul_f64 v[10:11], v[166:167], s[56:57]
	v_fma_f64 v[20:21], s[20:21], v[182:183], v[10:11]
	v_mul_f64 v[22:23], v[148:149], s[56:57]
	v_add_f64 v[16:17], v[20:21], v[16:17]
	v_fma_f64 v[20:21], v[184:185], s[20:21], -v[22:23]
	v_add_f64 v[20:21], v[20:21], v[12:13]
	v_mul_f64 v[12:13], v[200:201], s[26:27]
	;; [unrolled: 6-line block ×3, first 2 shown]
	v_fma_f64 v[26:27], s[24:25], v[194:195], v[16:17]
	v_add_f64 v[26:27], v[26:27], v[24:25]
	v_mul_f64 v[24:25], v[220:221], s[42:43]
	v_fma_f64 v[138:139], v[196:197], s[24:25], -v[24:25]
	v_add_f64 v[138:139], v[138:139], v[20:21]
	v_mul_f64 v[20:21], v[68:69], s[52:53]
	v_fma_f64 v[142:143], s[14:15], v[202:203], v[20:21]
	v_accvgpr_write_b32 a57, v31
	v_add_f64 v[142:143], v[142:143], v[26:27]
	v_mul_f64 v[26:27], v[244:245], s[52:53]
	v_accvgpr_write_b32 a56, v30
	v_accvgpr_write_b32 a55, v29
	;; [unrolled: 1-line block ×3, first 2 shown]
	v_fma_f64 v[28:29], v[204:205], s[14:15], -v[26:27]
	v_add_f64 v[28:29], v[28:29], v[138:139]
	v_mul_f64 v[138:139], v[154:155], s[34:35]
	v_accvgpr_write_b32 a61, v35
	v_fma_f64 v[30:31], s[16:17], v[212:213], v[138:139]
	v_accvgpr_write_b32 a60, v34
	v_accvgpr_write_b32 a59, v33
	;; [unrolled: 1-line block ×3, first 2 shown]
	v_add_f64 v[32:33], v[30:31], v[142:143]
	v_mul_f64 v[142:143], v[162:163], s[34:35]
	v_fma_f64 v[30:31], v[216:217], s[16:17], -v[142:143]
	v_add_f64 v[34:35], v[30:31], v[28:29]
	v_accvgpr_read_b32 v31, a3
	v_accvgpr_read_b32 v30, a2
	v_mul_lo_u16_e32 v28, 17, v30
	v_lshlrev_b32_e32 v161, 4, v28
	v_accvgpr_write_b32 a101, v35
	s_waitcnt lgkmcnt(0)
	; wave barrier
	ds_write_b128 v161, a[122:125]
	ds_write_b128 v161, v[84:87] offset:16
	ds_write_b128 v161, v[92:95] offset:32
	;; [unrolled: 1-line block ×16, first 2 shown]
	v_lshl_add_u64 v[108:109], v[30:31], 0, 51
	v_accvgpr_write_b32 a100, v34
	v_accvgpr_write_b32 a99, v33
	;; [unrolled: 1-line block ×3, first 2 shown]
	v_mul_u32_u24_e32 v28, 17, v108
	scratch_store_dword off, v28, off offset:100 ; 4-byte Folded Spill
	s_and_saveexec_b64 s[60:61], vcc
	s_cbranch_execz .LBB0_7
; %bb.6:
	v_mul_f64 v[28:29], v[164:165], s[24:25]
	v_fma_f64 v[30:31], s[54:55], v[234:235], v[28:29]
	v_mul_f64 v[72:73], v[172:173], s[0:1]
	v_add_f64 v[30:31], v[2:3], v[30:31]
	v_fma_f64 v[74:75], s[26:27], v[240:241], v[72:73]
	v_add_f64 v[30:31], v[74:75], v[30:31]
	v_mul_f64 v[74:75], v[176:177], s[22:23]
	v_fma_f64 v[76:77], s[48:49], v[252:253], v[74:75]
	v_add_f64 v[30:31], v[76:77], v[30:31]
	v_mul_f64 v[76:77], v[184:185], s[14:15]
	;; [unrolled: 3-line block ×5, first 2 shown]
	v_fma_f64 v[84:85], s[50:51], v[244:245], v[82:83]
	v_mul_f64 v[86:87], v[238:239], s[42:43]
	v_add_f64 v[30:31], v[84:85], v[30:31]
	v_mul_f64 v[84:85], v[250:251], s[46:47]
	v_fma_f64 v[88:89], s[24:25], v[158:159], v[86:87]
	v_fmac_f64_e32 v[28:29], s[42:43], v[234:235]
	v_add_f64 v[88:89], v[0:1], v[88:89]
	v_fma_f64 v[90:91], s[0:1], v[170:171], v[84:85]
	v_fmac_f64_e32 v[72:73], s[46:47], v[240:241]
	v_add_f64 v[28:29], v[2:3], v[28:29]
	v_add_f64 v[88:89], v[90:91], v[88:89]
	v_mul_f64 v[90:91], v[146:147], s[40:41]
	v_fmac_f64_e32 v[74:75], s[40:41], v[252:253]
	v_add_f64 v[28:29], v[72:73], v[28:29]
	v_fma_f64 v[92:93], s[22:23], v[174:175], v[90:91]
	v_mul_f64 v[96:97], v[166:167], s[52:53]
	v_add_f64 v[28:29], v[74:75], v[28:29]
	v_fma_f64 v[74:75], v[158:159], s[24:25], -v[86:87]
	v_add_f64 v[88:89], v[92:93], v[88:89]
	v_fma_f64 v[92:93], s[14:15], v[182:183], v[96:97]
	v_mul_f64 v[98:99], v[200:201], s[38:39]
	v_fma_f64 v[72:73], v[170:171], s[0:1], -v[84:85]
	v_add_f64 v[74:75], v[0:1], v[74:75]
	v_add_f64 v[88:89], v[92:93], v[88:89]
	v_fma_f64 v[92:93], s[20:21], v[188:189], v[98:99]
	v_mul_f64 v[100:101], v[230:231], s[44:45]
	v_fmac_f64_e32 v[76:77], s[52:53], v[148:149]
	v_add_f64 v[72:73], v[72:73], v[74:75]
	v_fma_f64 v[74:75], v[174:175], s[22:23], -v[90:91]
	v_add_f64 v[88:89], v[92:93], v[88:89]
	v_fma_f64 v[92:93], s[10:11], v[194:195], v[100:101]
	v_mul_f64 v[68:69], v[68:69], s[34:35]
	v_fmac_f64_e32 v[78:79], s[38:39], v[178:179]
	v_add_f64 v[28:29], v[76:77], v[28:29]
	v_add_f64 v[72:73], v[74:75], v[72:73]
	v_fma_f64 v[74:75], v[182:183], s[14:15], -v[96:97]
	v_add_f64 v[88:89], v[92:93], v[88:89]
	v_fma_f64 v[92:93], s[16:17], v[202:203], v[68:69]
	v_mul_f64 v[102:103], v[216:217], s[18:19]
	v_fmac_f64_e32 v[80:81], s[44:45], v[220:221]
	v_add_f64 v[28:29], v[78:79], v[28:29]
	v_add_f64 v[72:73], v[74:75], v[72:73]
	v_fma_f64 v[74:75], v[188:189], s[20:21], -v[98:99]
	v_add_f64 v[88:89], v[92:93], v[88:89]
	v_fma_f64 v[92:93], s[28:29], v[162:163], v[102:103]
	v_fmac_f64_e32 v[82:83], s[34:35], v[244:245]
	v_add_f64 v[28:29], v[80:81], v[28:29]
	v_add_f64 v[72:73], v[74:75], v[72:73]
	v_fma_f64 v[74:75], v[194:195], s[10:11], -v[100:101]
	v_add_f64 v[94:95], v[92:93], v[30:31]
	v_mul_f64 v[30:31], v[154:155], s[58:59]
	v_fmac_f64_e32 v[102:103], s[58:59], v[162:163]
	v_add_f64 v[28:29], v[82:83], v[28:29]
	v_add_f64 v[72:73], v[74:75], v[72:73]
	v_fma_f64 v[68:69], v[202:203], s[16:17], -v[68:69]
	v_add_f64 v[68:69], v[68:69], v[72:73]
	v_add_f64 v[74:75], v[102:103], v[28:29]
	v_fma_f64 v[28:29], v[212:213], s[18:19], -v[30:31]
	v_add_f64 v[72:73], v[28:29], v[68:69]
	v_mul_f64 v[68:69], v[184:185], s[20:21]
	v_add_f64 v[22:23], v[22:23], v[68:69]
	v_mul_f64 v[68:69], v[176:177], s[18:19]
	;; [unrolled: 2-line block ×4, first 2 shown]
	v_add_f64 v[68:69], v[136:137], v[68:69]
	v_add_f64 v[68:69], v[2:3], v[68:69]
	;; [unrolled: 1-line block ×5, first 2 shown]
	v_mul_f64 v[22:23], v[202:203], s[14:15]
	v_add_f64 v[20:21], v[22:23], -v[20:21]
	v_mul_f64 v[22:23], v[194:195], s[24:25]
	v_add_f64 v[16:17], v[22:23], -v[16:17]
	;; [unrolled: 2-line block ×7, first 2 shown]
	v_add_f64 v[4:5], v[0:1], v[4:5]
	v_add_f64 v[4:5], v[6:7], v[4:5]
	v_fma_f64 v[92:93], s[18:19], v[212:213], v[30:31]
	v_mul_f64 v[30:31], v[204:205], s[14:15]
	v_add_f64 v[4:5], v[8:9], v[4:5]
	v_add_f64 v[26:27], v[26:27], v[30:31]
	v_mul_f64 v[30:31], v[196:197], s[24:25]
	v_add_f64 v[4:5], v[10:11], v[4:5]
	v_add_f64 v[24:25], v[24:25], v[30:31]
	;; [unrolled: 3-line block ×4, first 2 shown]
	v_add_f64 v[18:19], v[18:19], -v[138:139]
	v_add_f64 v[4:5], v[20:21], v[4:5]
	v_mul_f64 v[28:29], v[216:217], s[16:17]
	v_add_f64 v[14:15], v[24:25], v[14:15]
	v_add_f64 v[76:77], v[18:19], v[4:5]
	v_mul_f64 v[18:19], v[164:165], s[20:21]
	v_add_f64 v[28:29], v[142:143], v[28:29]
	;; [unrolled: 3-line block ×3, first 2 shown]
	v_mul_f64 v[22:23], v[158:159], s[20:21]
	v_add_f64 v[78:79], v[28:29], v[14:15]
	v_mul_f64 v[14:15], v[176:177], s[0:1]
	v_add_f64 v[16:17], v[222:223], v[16:17]
	v_add_f64 v[18:19], v[2:3], v[18:19]
	v_mul_f64 v[20:21], v[170:171], s[16:17]
	v_add_f64 v[22:23], v[22:23], -v[198:199]
	v_mul_f64 v[12:13], v[184:185], s[22:23]
	v_add_f64 v[14:15], v[226:227], v[14:15]
	v_add_f64 v[16:17], v[16:17], v[18:19]
	v_mul_f64 v[18:19], v[174:175], s[0:1]
	v_add_f64 v[20:21], v[20:21], -v[206:207]
	v_add_f64 v[22:23], v[0:1], v[22:23]
	v_add_f64 v[12:13], v[232:233], v[12:13]
	;; [unrolled: 1-line block ×3, first 2 shown]
	v_mul_f64 v[16:17], v[182:183], s[22:23]
	v_add_f64 v[18:19], v[18:19], -v[208:209]
	v_add_f64 v[20:21], v[20:21], v[22:23]
	v_add_f64 v[12:13], v[12:13], v[14:15]
	v_mul_f64 v[14:15], v[188:189], s[18:19]
	v_add_f64 v[16:17], v[16:17], -v[210:211]
	v_add_f64 v[18:19], v[18:19], v[20:21]
	v_mul_f64 v[10:11], v[190:191], s[18:19]
	v_add_f64 v[14:15], v[14:15], -v[218:219]
	v_add_f64 v[16:17], v[16:17], v[18:19]
	v_accvgpr_read_b32 v18, a62
	v_mul_f64 v[8:9], v[196:197], s[14:15]
	v_add_f64 v[10:11], v[242:243], v[10:11]
	v_add_f64 v[14:15], v[14:15], v[16:17]
	v_mul_f64 v[16:17], v[172:173], s[22:23]
	v_accvgpr_read_b32 v19, a63
	v_accvgpr_read_b32 v20, a38
	v_add_f64 v[8:9], v[246:247], v[8:9]
	v_add_f64 v[10:11], v[10:11], v[12:13]
	v_mul_f64 v[12:13], v[194:195], s[14:15]
	v_add_f64 v[16:17], v[18:19], v[16:17]
	v_mul_f64 v[18:19], v[164:165], s[16:17]
	v_accvgpr_read_b32 v21, a39
	v_add_f64 v[8:9], v[8:9], v[10:11]
	v_mul_f64 v[10:11], v[202:203], s[24:25]
	v_add_f64 v[12:13], v[12:13], -v[224:225]
	v_add_f64 v[18:19], v[20:21], v[18:19]
	v_add_f64 v[10:11], v[10:11], -v[228:229]
	v_add_f64 v[12:13], v[12:13], v[14:15]
	v_mul_f64 v[14:15], v[176:177], s[14:15]
	v_add_f64 v[18:19], v[2:3], v[18:19]
	v_add_f64 v[10:11], v[10:11], v[12:13]
	v_mul_f64 v[12:13], v[184:185], s[10:11]
	v_add_f64 v[14:15], v[150:151], v[14:15]
	v_add_f64 v[16:17], v[16:17], v[18:19]
	;; [unrolled: 1-line block ×4, first 2 shown]
	v_accvgpr_read_b32 v16, a40
	v_add_f64 v[12:13], v[12:13], v[14:15]
	v_mul_f64 v[14:15], v[188:189], s[24:25]
	v_accvgpr_read_b32 v17, a41
	v_accvgpr_read_b32 v18, a68
	v_add_f64 v[14:15], v[14:15], -v[16:17]
	v_mul_f64 v[16:17], v[182:183], s[10:11]
	v_accvgpr_read_b32 v19, a69
	v_accvgpr_read_b32 v20, a66
	v_add_f64 v[16:17], v[16:17], -v[18:19]
	v_mul_f64 v[18:19], v[174:175], s[14:15]
	v_accvgpr_read_b32 v21, a67
	v_accvgpr_read_b32 v23, a1
	v_mul_f64 v[6:7], v[204:205], s[24:25]
	v_add_f64 v[18:19], v[18:19], -v[20:21]
	v_mul_f64 v[20:21], v[170:171], s[22:23]
	v_accvgpr_read_b32 v22, a0
	v_accvgpr_read_b32 v24, a254
	v_add_f64 v[6:7], v[248:249], v[6:7]
	v_add_f64 v[20:21], v[20:21], -v[22:23]
	v_mul_f64 v[22:23], v[158:159], s[16:17]
	v_accvgpr_read_b32 v25, a255
	v_add_f64 v[6:7], v[6:7], v[8:9]
	v_mul_f64 v[8:9], v[212:213], s[10:11]
	v_add_f64 v[22:23], v[22:23], -v[24:25]
	v_add_f64 v[8:9], v[8:9], -v[236:237]
	v_add_f64 v[22:23], v[0:1], v[22:23]
	v_mul_f64 v[4:5], v[216:217], s[10:11]
	v_add_f64 v[80:81], v[8:9], v[10:11]
	v_mul_f64 v[10:11], v[190:191], s[24:25]
	v_add_f64 v[20:21], v[20:21], v[22:23]
	v_add_f64 v[4:5], v[254:255], v[4:5]
	v_mul_f64 v[8:9], v[196:197], s[18:19]
	v_add_f64 v[10:11], v[180:181], v[10:11]
	v_add_f64 v[18:19], v[18:19], v[20:21]
	;; [unrolled: 1-line block ×3, first 2 shown]
	v_mul_f64 v[6:7], v[204:205], s[0:1]
	v_add_f64 v[8:9], v[186:187], v[8:9]
	v_add_f64 v[10:11], v[10:11], v[12:13]
	v_mul_f64 v[12:13], v[194:195], s[18:19]
	v_add_f64 v[16:17], v[16:17], v[18:19]
	v_mul_f64 v[4:5], v[216:217], s[20:21]
	v_add_f64 v[6:7], v[70:71], v[6:7]
	v_add_f64 v[8:9], v[8:9], v[10:11]
	v_mul_f64 v[10:11], v[202:203], s[0:1]
	v_add_f64 v[12:13], v[12:13], -v[144:145]
	v_add_f64 v[14:15], v[14:15], v[16:17]
	v_add_f64 v[4:5], v[192:193], v[4:5]
	;; [unrolled: 1-line block ×3, first 2 shown]
	v_mul_f64 v[8:9], v[212:213], s[20:21]
	v_add_f64 v[10:11], v[10:11], -v[152:153]
	v_add_f64 v[12:13], v[12:13], v[14:15]
	v_add_f64 v[8:9], v[8:9], -v[168:169]
	v_add_f64 v[10:11], v[10:11], v[12:13]
	v_add_f64 v[86:87], v[4:5], v[6:7]
	v_accvgpr_read_b32 v6, a252
	v_add_f64 v[84:85], v[8:9], v[10:11]
	v_mul_f64 v[4:5], v[216:217], s[14:15]
	v_accvgpr_read_b32 v7, a253
	v_accvgpr_read_b32 v8, a250
	v_add_f64 v[4:5], v[6:7], v[4:5]
	v_mul_f64 v[6:7], v[204:205], s[20:21]
	v_accvgpr_read_b32 v9, a251
	;; [unrolled: 4-line block ×8, first 2 shown]
	v_add_f64 v[18:19], v[20:21], v[18:19]
	v_add_f64 v[18:19], v[2:3], v[18:19]
	;; [unrolled: 1-line block ×7, first 2 shown]
	v_accvgpr_read_b32 v10, a244
	v_add_f64 v[6:7], v[6:7], v[8:9]
	v_mul_f64 v[8:9], v[212:213], s[14:15]
	v_accvgpr_read_b32 v11, a245
	v_accvgpr_read_b32 v12, a240
	v_add_f64 v[8:9], v[8:9], -v[10:11]
	v_mul_f64 v[10:11], v[202:203], s[20:21]
	v_accvgpr_read_b32 v13, a241
	v_accvgpr_read_b32 v14, a236
	v_add_f64 v[10:11], v[10:11], -v[12:13]
	;; [unrolled: 4-line block ×7, first 2 shown]
	v_mul_f64 v[22:23], v[158:159], s[18:19]
	v_accvgpr_read_b32 v25, a223
	v_add_f64 v[22:23], v[22:23], -v[24:25]
	v_add_f64 v[22:23], v[0:1], v[22:23]
	v_add_f64 v[20:21], v[20:21], v[22:23]
	v_add_f64 v[18:19], v[18:19], v[20:21]
	v_add_f64 v[16:17], v[16:17], v[18:19]
	v_add_f64 v[14:15], v[14:15], v[16:17]
	v_add_f64 v[12:13], v[12:13], v[14:15]
	v_add_f64 v[10:11], v[10:11], v[12:13]
	v_add_f64 v[90:91], v[4:5], v[6:7]
	v_accvgpr_read_b32 v6, a220
	v_add_f64 v[92:93], v[92:93], v[88:89]
	v_add_f64 v[88:89], v[8:9], v[10:11]
	v_mul_f64 v[4:5], v[216:217], s[22:23]
	v_accvgpr_read_b32 v7, a221
	v_accvgpr_read_b32 v8, a218
	v_add_f64 v[4:5], v[6:7], v[4:5]
	v_mul_f64 v[6:7], v[204:205], s[18:19]
	v_accvgpr_read_b32 v9, a219
	v_accvgpr_read_b32 v10, a216
	;; [unrolled: 4-line block ×7, first 2 shown]
	v_add_f64 v[16:17], v[18:19], v[16:17]
	v_mul_f64 v[18:19], v[164:165], s[10:11]
	v_accvgpr_read_b32 v21, a207
	v_add_f64 v[18:19], v[20:21], v[18:19]
	v_add_f64 v[18:19], v[2:3], v[18:19]
	v_add_f64 v[16:17], v[16:17], v[18:19]
	v_add_f64 v[14:15], v[14:15], v[16:17]
	v_add_f64 v[12:13], v[12:13], v[14:15]
	v_add_f64 v[10:11], v[10:11], v[12:13]
	v_add_f64 v[8:9], v[8:9], v[10:11]
	v_accvgpr_read_b32 v30, a204
	v_add_f64 v[6:7], v[6:7], v[8:9]
	v_mul_f64 v[8:9], v[212:213], s[22:23]
	v_accvgpr_read_b32 v31, a205
	v_accvgpr_read_b32 v32, a202
	v_add_f64 v[8:9], v[8:9], -v[30:31]
	v_mul_f64 v[30:31], v[202:203], s[18:19]
	v_accvgpr_read_b32 v33, a203
	v_add_f64 v[30:31], v[30:31], -v[32:33]
	v_accvgpr_read_b32 v32, a200
	v_mul_f64 v[68:69], v[194:195], s[0:1]
	v_accvgpr_read_b32 v33, a201
	v_add_f64 v[68:69], v[68:69], -v[32:33]
	v_accvgpr_read_b32 v32, a198
	;; [unrolled: 4-line block ×7, first 2 shown]
	v_mul_f64 v[126:127], v[216:217], s[0:1]
	v_accvgpr_read_b32 v33, a189
	v_add_f64 v[126:127], v[32:33], v[126:127]
	v_accvgpr_read_b32 v32, a186
	v_mul_f64 v[124:125], v[204:205], s[10:11]
	v_accvgpr_read_b32 v33, a187
	v_add_f64 v[124:125], v[32:33], v[124:125]
	v_accvgpr_read_b32 v32, a184
	;; [unrolled: 4-line block ×4, first 2 shown]
	v_mul_f64 v[114:115], v[184:185], s[24:25]
	v_accvgpr_read_b32 v33, a177
	v_add_f64 v[24:25], v[0:1], v[24:25]
	v_add_f64 v[114:115], v[32:33], v[114:115]
	v_accvgpr_read_b32 v32, a172
	v_mul_f64 v[106:107], v[176:177], s[20:21]
	v_add_f64 v[24:25], v[28:29], v[24:25]
	v_accvgpr_read_b32 v33, a173
	v_add_f64 v[24:25], v[98:99], v[24:25]
	v_add_f64 v[106:107], v[32:33], v[106:107]
	v_accvgpr_read_b32 v32, a166
	v_mul_f64 v[10:11], v[172:173], s[18:19]
	v_add_f64 v[24:25], v[96:97], v[24:25]
	;; [unrolled: 6-line block ×3, first 2 shown]
	v_accvgpr_read_b32 v33, a135
	v_add_f64 v[24:25], v[30:31], v[24:25]
	v_add_f64 v[22:23], v[32:33], v[22:23]
	v_accvgpr_read_b32 v32, a178
	v_add_f64 v[6:7], v[4:5], v[6:7]
	v_add_f64 v[4:5], v[8:9], v[24:25]
	v_mul_f64 v[8:9], v[202:203], s[10:11]
	v_accvgpr_read_b32 v33, a179
	v_add_f64 v[22:23], v[2:3], v[22:23]
	v_add_f64 v[8:9], v[8:9], -v[32:33]
	v_accvgpr_read_b32 v32, a174
	v_mul_f64 v[120:121], v[194:195], s[16:17]
	v_add_f64 v[10:11], v[10:11], v[22:23]
	v_accvgpr_read_b32 v33, a175
	v_add_f64 v[10:11], v[106:107], v[10:11]
	v_add_f64 v[106:107], v[120:121], -v[32:33]
	v_accvgpr_read_b32 v32, a170
	v_mul_f64 v[116:117], v[188:189], s[22:23]
	v_accvgpr_read_b32 v33, a171
	v_add_f64 v[10:11], v[114:115], v[10:11]
	v_add_f64 v[114:115], v[116:117], -v[32:33]
	v_accvgpr_read_b32 v32, a168
	v_mul_f64 v[112:113], v[182:183], s[24:25]
	v_accvgpr_read_b32 v33, a169
	v_add_f64 v[112:113], v[112:113], -v[32:33]
	v_accvgpr_read_b32 v32, a164
	v_mul_f64 v[104:105], v[174:175], s[20:21]
	v_accvgpr_read_b32 v33, a165
	;; [unrolled: 4-line block ×4, first 2 shown]
	v_add_f64 v[16:17], v[16:17], -v[32:33]
	v_add_f64 v[16:17], v[0:1], v[16:17]
	v_add_f64 v[14:15], v[14:15], v[16:17]
	;; [unrolled: 1-line block ×4, first 2 shown]
	v_accvgpr_read_b32 v22, a180
	v_add_f64 v[14:15], v[114:115], v[14:15]
	v_mul_f64 v[132:133], v[212:213], s[0:1]
	v_accvgpr_read_b32 v23, a181
	v_add_f64 v[14:15], v[106:107], v[14:15]
	v_accvgpr_read_b32 v32, a146
	v_mul_f64 v[28:29], v[184:185], s[18:19]
	v_add_f64 v[22:23], v[132:133], -v[22:23]
	v_add_f64 v[8:9], v[8:9], v[14:15]
	v_accvgpr_read_b32 v33, a147
	v_add_f64 v[8:9], v[22:23], v[8:9]
	v_accvgpr_read_b32 v22, a154
	v_add_f64 v[28:29], v[32:33], v[28:29]
	v_accvgpr_read_b32 v32, a142
	v_mul_f64 v[102:103], v[176:177], s[10:11]
	v_mul_f64 v[68:69], v[196:197], s[20:21]
	v_accvgpr_read_b32 v23, a155
	v_accvgpr_read_b32 v33, a143
	v_add_f64 v[22:23], v[22:23], v[68:69]
	v_add_f64 v[68:69], v[32:33], v[102:103]
	v_accvgpr_read_b32 v32, a136
	v_mul_f64 v[12:13], v[172:173], s[14:15]
	v_accvgpr_read_b32 v33, a137
	v_add_f64 v[12:13], v[32:33], v[12:13]
	v_accvgpr_read_b32 v32, a128
	v_mul_f64 v[18:19], v[164:165], s[0:1]
	v_accvgpr_read_b32 v33, a129
	v_accvgpr_read_b32 v16, a158
	v_add_f64 v[18:19], v[32:33], v[18:19]
	v_mul_f64 v[24:25], v[204:205], s[22:23]
	v_accvgpr_read_b32 v17, a159
	v_add_f64 v[18:19], v[2:3], v[18:19]
	v_add_f64 v[16:17], v[16:17], v[24:25]
	v_accvgpr_read_b32 v24, a150
	v_add_f64 v[12:13], v[12:13], v[18:19]
	v_mul_f64 v[96:97], v[190:191], s[16:17]
	v_accvgpr_read_b32 v25, a151
	v_add_f64 v[12:13], v[68:69], v[12:13]
	v_add_f64 v[24:25], v[24:25], v[96:97]
	v_add_f64 v[12:13], v[28:29], v[12:13]
	v_add_f64 v[12:13], v[24:25], v[12:13]
	v_add_f64 v[12:13], v[22:23], v[12:13]
	v_add_f64 v[12:13], v[16:17], v[12:13]
	v_accvgpr_read_b32 v16, a156
	v_mul_f64 v[30:31], v[202:203], s[22:23]
	v_accvgpr_read_b32 v17, a157
	v_add_f64 v[16:17], v[30:31], -v[16:17]
	v_accvgpr_read_b32 v30, a132
	v_mul_f64 v[26:27], v[170:171], s[14:15]
	v_accvgpr_read_b32 v31, a133
	v_add_f64 v[26:27], v[26:27], -v[30:31]
	v_accvgpr_read_b32 v30, a126
	v_mul_f64 v[20:21], v[158:159], s[0:1]
	v_accvgpr_read_b32 v31, a127
	v_accvgpr_read_b32 v28, a140
	v_add_f64 v[20:21], v[20:21], -v[30:31]
	v_mul_f64 v[100:101], v[174:175], s[10:11]
	v_accvgpr_read_b32 v24, a144
	v_accvgpr_read_b32 v29, a141
	v_add_f64 v[20:21], v[0:1], v[20:21]
	v_mul_f64 v[110:111], v[182:183], s[18:19]
	v_accvgpr_read_b32 v14, a162
	v_accvgpr_read_b32 v22, a148
	;; [unrolled: 1-line block ×3, first 2 shown]
	v_add_f64 v[28:29], v[100:101], -v[28:29]
	v_add_f64 v[20:21], v[26:27], v[20:21]
	v_mul_f64 v[98:99], v[188:189], s[16:17]
	v_mul_f64 v[130:131], v[216:217], s[24:25]
	v_accvgpr_read_b32 v15, a163
	v_accvgpr_read_b32 v18, a152
	;; [unrolled: 1-line block ×3, first 2 shown]
	v_add_f64 v[24:25], v[110:111], -v[24:25]
	v_add_f64 v[20:21], v[28:29], v[20:21]
	v_mul_f64 v[70:71], v[194:195], s[20:21]
	v_add_f64 v[14:15], v[14:15], v[130:131]
	v_accvgpr_read_b32 v19, a153
	v_add_f64 v[22:23], v[98:99], -v[22:23]
	v_add_f64 v[20:21], v[24:25], v[20:21]
	v_add_f64 v[14:15], v[14:15], v[12:13]
	v_accvgpr_read_b32 v12, a160
	v_add_f64 v[18:19], v[70:71], -v[18:19]
	v_add_f64 v[20:21], v[22:23], v[20:21]
	v_mul_f64 v[128:129], v[212:213], s[24:25]
	v_accvgpr_read_b32 v13, a161
	v_add_f64 v[18:19], v[18:19], v[20:21]
	v_add_f64 v[12:13], v[128:129], -v[12:13]
	v_add_f64 v[16:17], v[16:17], v[18:19]
	v_add_f64 v[12:13], v[12:13], v[16:17]
	v_accvgpr_read_b32 v16, a54
	v_accvgpr_read_b32 v18, a56
	v_accvgpr_read_b32 v19, a57
	v_add_f64 v[2:3], v[2:3], v[18:19]
	v_accvgpr_read_b32 v18, a58
	v_accvgpr_read_b32 v20, a60
	v_accvgpr_read_b32 v21, a61
	;; [unrolled: 4-line block ×4, first 2 shown]
	v_accvgpr_read_b32 v17, a55
	v_add_f64 v[2:3], v[2:3], v[24:25]
	v_accvgpr_read_b32 v24, a106
	v_accvgpr_read_b32 v19, a59
	;; [unrolled: 1-line block ×4, first 2 shown]
	v_add_f64 v[0:1], v[0:1], v[16:17]
	v_accvgpr_read_b32 v21, a71
	v_add_f64 v[2:3], v[2:3], v[26:27]
	v_accvgpr_read_b32 v26, a110
	v_add_f64 v[0:1], v[0:1], v[18:19]
	v_accvgpr_read_b32 v23, a103
	v_accvgpr_read_b32 v28, a112
	v_accvgpr_read_b32 v29, a113
	v_add_f64 v[0:1], v[0:1], v[20:21]
	v_accvgpr_read_b32 v25, a107
	v_add_f64 v[2:3], v[2:3], v[28:29]
	v_accvgpr_read_b32 v28, a114
	v_add_f64 v[0:1], v[0:1], v[22:23]
	v_accvgpr_read_b32 v27, a111
	v_accvgpr_read_b32 v30, a116
	v_accvgpr_read_b32 v31, a117
	;; [unrolled: 8-line block ×3, first 2 shown]
	v_add_f64 v[0:1], v[0:1], v[28:29]
	v_add_f64 v[2:3], v[2:3], v[32:33]
	v_add_f64 v[0:1], v[0:1], v[30:31]
	v_add_f64 v[2:3], v[2:3], v[38:39]
	v_add_f64 v[0:1], v[0:1], v[36:37]
	v_add_f64 v[2:3], v[2:3], v[42:43]
	v_add_f64 v[0:1], v[0:1], v[40:41]
	v_add_f64 v[2:3], v[2:3], v[46:47]
	v_add_f64 v[0:1], v[0:1], v[44:45]
	v_add_f64 v[2:3], v[2:3], v[50:51]
	v_add_f64 v[0:1], v[0:1], v[48:49]
	v_add_f64 v[2:3], v[2:3], v[54:55]
	v_add_f64 v[0:1], v[0:1], v[52:53]
	v_add_f64 v[10:11], v[118:119], v[10:11]
	v_add_f64 v[2:3], v[2:3], v[58:59]
	v_add_f64 v[0:1], v[0:1], v[56:57]
	v_add_f64 v[10:11], v[122:123], v[10:11]
	v_add_f64 v[2:3], v[2:3], v[62:63]
	v_add_f64 v[0:1], v[0:1], v[60:61]
	v_mul_u32_u24_e32 v16, 17, v108
	v_add_f64 v[10:11], v[124:125], v[10:11]
	v_add_f64 v[2:3], v[2:3], v[66:67]
	;; [unrolled: 1-line block ×3, first 2 shown]
	v_lshlrev_b32_e32 v16, 4, v16
	v_add_f64 v[10:11], v[126:127], v[10:11]
	ds_write_b128 v16, v[0:3]
	ds_write_b128 v16, v[12:15] offset:16
	ds_write_b128 v16, v[8:11] offset:32
	;; [unrolled: 1-line block ×16, first 2 shown]
.LBB0_7:
	s_or_b64 exec, exec, s[60:61]
	v_accvgpr_read_b32 v239, a3
	v_accvgpr_read_b32 v238, a2
	s_mov_b64 s[0:1], 0x66
	v_lshl_add_u64 v[124:125], v[238:239], 0, s[0:1]
	s_mov_b64 s[0:1], 0x99
	v_lshl_add_u64 v[122:123], v[238:239], 0, s[0:1]
	s_mov_b64 s[0:1], 0xcc
	v_lshl_add_u64 v[120:121], v[238:239], 0, s[0:1]
	s_mov_b64 s[0:1], 0xff
	v_lshl_add_u64 v[118:119], v[238:239], 0, s[0:1]
	s_mov_b64 s[0:1], 0x132
	v_lshl_add_u64 v[116:117], v[238:239], 0, s[0:1]
	s_mov_b64 s[0:1], 0x165
	v_lshl_add_u64 v[114:115], v[238:239], 0, s[0:1]
	s_mov_b64 s[0:1], 0x198
	v_lshl_add_u64 v[112:113], v[238:239], 0, s[0:1]
	s_movk_i32 s0, 0xf1
	v_mul_lo_u16_sdwa v109, v238, s0 dst_sel:DWORD dst_unused:UNUSED_PAD src0_sel:BYTE_0 src1_sel:DWORD
	v_lshlrev_b32_e32 v110, 4, v238
	v_mov_b32_e32 v111, 0
	v_lshrrev_b16_e32 v109, 12, v109
	v_lshl_add_u64 v[156:157], s[12:13], 0, v[110:111]
	v_mul_lo_u16_e32 v110, 17, v109
	v_sub_u16_e32 v110, v238, v110
	v_lshlrev_b16_e32 v113, 1, v110
	v_and_b32_e32 v113, 0xfe, v113
	v_lshlrev_b32_e32 v113, 4, v113
	s_waitcnt lgkmcnt(0)
	; wave barrier
	s_waitcnt lgkmcnt(0)
	ds_read_b128 v[0:3], v160
	ds_read_b128 v[104:107], v160 offset:7344
	ds_read_b128 v[100:103], v160 offset:14688
	;; [unrolled: 1-line block ×26, first 2 shown]
	global_load_dwordx4 v[128:131], v113, s[8:9] offset:16
	global_load_dwordx4 v[132:135], v113, s[8:9]
	s_mov_b32 s10, 0xe8584caa
	s_mov_b32 s11, 0x3febb67a
	;; [unrolled: 1-line block ×4, first 2 shown]
	v_mad_legacy_u16 v110, v109, 51, v110
	v_mov_b32_e32 v109, 4
	v_lshlrev_b32_sdwa v110, v109, v110 dst_sel:DWORD dst_unused:UNUSED_PAD src0_sel:DWORD src1_sel:BYTE_0
	v_accvgpr_write_b32 a180, v110
	s_mov_b32 s28, 0x523c161c
	s_mov_b32 s16, 0xa2cf5039
	;; [unrolled: 1-line block ×16, first 2 shown]
	s_waitcnt vmcnt(1)
	v_accvgpr_write_b32 a102, v128
	s_waitcnt vmcnt(0) lgkmcnt(14)
	v_mul_f64 v[126:127], v[106:107], v[134:135]
	v_fma_f64 v[126:127], v[104:105], v[132:133], -v[126:127]
	v_mul_f64 v[104:105], v[104:105], v[134:135]
	v_fmac_f64_e32 v[104:105], v[106:107], v[132:133]
	v_mul_f64 v[106:107], v[102:103], v[130:131]
	v_fma_f64 v[106:107], v[100:101], v[128:129], -v[106:107]
	v_mul_f64 v[100:101], v[100:101], v[130:131]
	v_fmac_f64_e32 v[100:101], v[102:103], v[128:129]
	v_mul_lo_u16_sdwa v102, v108, s0 dst_sel:DWORD dst_unused:UNUSED_PAD src0_sel:BYTE_0 src1_sel:DWORD
	v_lshrrev_b16_e32 v113, 12, v102
	v_mul_lo_u16_e32 v102, 17, v113
	v_sub_u16_e32 v102, v108, v102
	v_and_b32_e32 v115, 0xff, v102
	v_accvgpr_write_b32 a106, v132
	v_lshlrev_b32_e32 v102, 5, v115
	v_accvgpr_write_b32 a107, v133
	v_accvgpr_write_b32 a108, v134
	v_accvgpr_write_b32 a109, v135
	v_accvgpr_write_b32 a103, v129
	v_accvgpr_write_b32 a104, v130
	v_accvgpr_write_b32 a105, v131
	global_load_dwordx4 v[128:131], v102, s[8:9] offset:16
	global_load_dwordx4 v[132:135], v102, s[8:9]
	s_waitcnt vmcnt(1)
	v_accvgpr_write_b32 a110, v128
	s_waitcnt vmcnt(0)
	v_mul_f64 v[102:103], v[94:95], v[134:135]
	v_fma_f64 v[102:103], v[92:93], v[132:133], -v[102:103]
	v_mul_f64 v[92:93], v[92:93], v[134:135]
	v_fmac_f64_e32 v[92:93], v[94:95], v[132:133]
	v_mul_f64 v[94:95], v[98:99], v[130:131]
	v_fma_f64 v[94:95], v[96:97], v[128:129], -v[94:95]
	v_mul_f64 v[96:97], v[96:97], v[130:131]
	v_fmac_f64_e32 v[96:97], v[98:99], v[128:129]
	v_mul_lo_u16_sdwa v98, v124, s0 dst_sel:DWORD dst_unused:UNUSED_PAD src0_sel:BYTE_0 src1_sel:DWORD
	v_lshrrev_b16_e32 v117, 12, v98
	v_mul_lo_u16_e32 v98, 17, v117
	v_sub_u16_e32 v98, v124, v98
	v_and_b32_e32 v119, 0xff, v98
	v_accvgpr_write_b32 a114, v132
	v_lshlrev_b32_e32 v98, 5, v119
	v_accvgpr_write_b32 a115, v133
	v_accvgpr_write_b32 a116, v134
	v_accvgpr_write_b32 a117, v135
	v_accvgpr_write_b32 a111, v129
	v_accvgpr_write_b32 a112, v130
	v_accvgpr_write_b32 a113, v131
	global_load_dwordx4 v[128:131], v98, s[8:9] offset:16
	global_load_dwordx4 v[132:135], v98, s[8:9]
	s_waitcnt vmcnt(1)
	v_accvgpr_write_b32 a118, v128
	s_waitcnt vmcnt(0)
	;; [unrolled: 26-line block ×3, first 2 shown]
	v_mul_f64 v[86:87], v[78:79], v[134:135]
	v_fma_f64 v[86:87], v[76:77], v[132:133], -v[86:87]
	v_mul_f64 v[76:77], v[76:77], v[134:135]
	v_fmac_f64_e32 v[76:77], v[78:79], v[132:133]
	v_mul_f64 v[78:79], v[82:83], v[130:131]
	v_fma_f64 v[78:79], v[80:81], v[128:129], -v[78:79]
	v_mul_f64 v[80:81], v[80:81], v[130:131]
	v_fmac_f64_e32 v[80:81], v[82:83], v[128:129]
	v_mul_lo_u16_sdwa v82, v120, s0 dst_sel:DWORD dst_unused:UNUSED_PAD src0_sel:BYTE_0 src1_sel:DWORD
	v_lshrrev_b16_e32 v125, 12, v82
	v_mul_lo_u16_e32 v82, 17, v125
	v_sub_u16_e32 v82, v120, v82
	v_and_b32_e32 v142, 0xff, v82
	v_accvgpr_write_b32 a130, v132
	v_lshlrev_b32_e32 v82, 5, v142
	v_accvgpr_write_b32 a131, v133
	v_accvgpr_write_b32 a132, v134
	;; [unrolled: 1-line block ×6, first 2 shown]
	global_load_dwordx4 v[128:131], v82, s[8:9] offset:16
	global_load_dwordx4 v[132:135], v82, s[8:9]
	s_mov_b32 s0, 0xf0f1
	s_waitcnt vmcnt(1)
	v_accvgpr_write_b32 a137, v131
	s_waitcnt vmcnt(0) lgkmcnt(13)
	v_mul_f64 v[82:83], v[74:75], v[134:135]
	v_fma_f64 v[82:83], v[72:73], v[132:133], -v[82:83]
	v_mul_f64 v[72:73], v[72:73], v[134:135]
	v_fmac_f64_e32 v[72:73], v[74:75], v[132:133]
	s_waitcnt lgkmcnt(12)
	v_mul_f64 v[74:75], v[70:71], v[130:131]
	v_fma_f64 v[74:75], v[68:69], v[128:129], -v[74:75]
	v_mul_f64 v[68:69], v[68:69], v[130:131]
	v_fmac_f64_e32 v[68:69], v[70:71], v[128:129]
	v_mul_u32_u24_sdwa v70, v118, s0 dst_sel:DWORD dst_unused:UNUSED_PAD src0_sel:WORD_0 src1_sel:DWORD
	v_lshrrev_b32_e32 v143, 20, v70
	v_mul_lo_u16_e32 v70, 17, v143
	v_sub_u16_e32 v144, v118, v70
	v_lshlrev_b16_e32 v70, 1, v144
	v_accvgpr_write_b32 a141, v135
	v_lshlrev_b32_e32 v70, 4, v70
	v_accvgpr_write_b32 a140, v134
	v_accvgpr_write_b32 a139, v133
	v_accvgpr_write_b32 a138, v132
	v_accvgpr_write_b32 a136, v130
	v_accvgpr_write_b32 a135, v129
	v_accvgpr_write_b32 a134, v128
	global_load_dwordx4 v[128:131], v70, s[8:9] offset:16
	global_load_dwordx4 v[132:135], v70, s[8:9]
	s_waitcnt vmcnt(1)
	v_accvgpr_write_b32 a145, v131
	s_waitcnt vmcnt(0) lgkmcnt(10)
	v_mul_f64 v[70:71], v[66:67], v[134:135]
	v_fma_f64 v[70:71], v[64:65], v[132:133], -v[70:71]
	v_mul_f64 v[64:65], v[64:65], v[134:135]
	v_fmac_f64_e32 v[64:65], v[66:67], v[132:133]
	s_waitcnt lgkmcnt(9)
	v_mul_f64 v[66:67], v[62:63], v[130:131]
	v_fma_f64 v[66:67], v[60:61], v[128:129], -v[66:67]
	v_mul_f64 v[60:61], v[60:61], v[130:131]
	v_fmac_f64_e32 v[60:61], v[62:63], v[128:129]
	v_mul_u32_u24_sdwa v62, v116, s0 dst_sel:DWORD dst_unused:UNUSED_PAD src0_sel:WORD_0 src1_sel:DWORD
	v_lshrrev_b32_e32 v145, 20, v62
	v_mul_lo_u16_e32 v62, 17, v145
	v_sub_u16_e32 v146, v116, v62
	v_lshlrev_b16_e32 v62, 1, v146
	v_accvgpr_write_b32 a149, v135
	v_lshlrev_b32_e32 v62, 4, v62
	v_accvgpr_write_b32 a148, v134
	v_accvgpr_write_b32 a147, v133
	v_accvgpr_write_b32 a146, v132
	v_accvgpr_write_b32 a144, v130
	v_accvgpr_write_b32 a143, v129
	v_accvgpr_write_b32 a142, v128
	global_load_dwordx4 v[128:131], v62, s[8:9] offset:16
	global_load_dwordx4 v[132:135], v62, s[8:9]
	;; [unrolled: 27-line block ×3, first 2 shown]
	s_waitcnt vmcnt(1)
	v_accvgpr_write_b32 a161, v137
	s_waitcnt vmcnt(0) lgkmcnt(4)
	v_mul_f64 v[54:55], v[50:51], v[132:133]
	v_fma_f64 v[54:55], v[48:49], v[130:131], -v[54:55]
	v_mul_f64 v[128:129], v[48:49], v[132:133]
	v_accvgpr_write_b32 a165, v133
	s_waitcnt lgkmcnt(3)
	v_mul_f64 v[48:49], v[46:47], v[136:137]
	v_accvgpr_write_b32 a164, v132
	v_accvgpr_write_b32 a163, v131
	;; [unrolled: 1-line block ×3, first 2 shown]
	v_fmac_f64_e32 v[128:129], v[50:51], v[130:131]
	v_fma_f64 v[130:131], v[44:45], v[134:135], -v[48:49]
	v_mul_f64 v[132:133], v[44:45], v[136:137]
	v_mul_u32_u24_sdwa v44, v112, s0 dst_sel:DWORD dst_unused:UNUSED_PAD src0_sel:WORD_0 src1_sel:DWORD
	v_lshrrev_b32_e32 v149, 20, v44
	v_mul_lo_u16_e32 v44, 17, v149
	v_sub_u16_e32 v150, v112, v44
	v_lshlrev_b16_e32 v44, 1, v150
	v_lshlrev_b32_e32 v44, 4, v44
	v_fmac_f64_e32 v[132:133], v[46:47], v[134:135]
	global_load_dwordx4 v[46:49], v44, s[8:9] offset:16
	global_load_dwordx4 v[138:141], v44, s[8:9]
	v_accvgpr_write_b32 a160, v136
	v_accvgpr_write_b32 a159, v135
	;; [unrolled: 1-line block ×3, first 2 shown]
	v_add_f64 v[50:51], v[92:93], v[96:97]
	s_waitcnt lgkmcnt(0)
	; wave barrier
	s_waitcnt lgkmcnt(0)
	s_movk_i32 s0, 0xa1
	s_waitcnt vmcnt(1)
	v_accvgpr_write_b32 a169, v49
	s_waitcnt vmcnt(0)
	v_accvgpr_write_b32 a173, v141
	v_mul_f64 v[44:45], v[42:43], v[140:141]
	v_mul_f64 v[136:137], v[40:41], v[140:141]
	v_accvgpr_write_b32 a172, v140
	v_accvgpr_write_b32 a171, v139
	;; [unrolled: 1-line block ×3, first 2 shown]
	v_mul_f64 v[140:141], v[36:37], v[48:49]
	v_fma_f64 v[134:135], v[40:41], v[138:139], -v[44:45]
	v_mul_f64 v[40:41], v[38:39], v[48:49]
	v_fmac_f64_e32 v[140:141], v[38:39], v[46:47]
	v_add_f64 v[38:39], v[126:127], v[106:107]
	v_fmac_f64_e32 v[136:137], v[42:43], v[138:139]
	v_fma_f64 v[138:139], v[36:37], v[46:47], -v[40:41]
	v_add_f64 v[36:37], v[0:1], v[126:127]
	v_fmac_f64_e32 v[0:1], -0.5, v[38:39]
	v_add_f64 v[38:39], v[104:105], -v[100:101]
	v_add_f64 v[42:43], v[104:105], v[100:101]
	v_accvgpr_write_b32 a168, v48
	v_accvgpr_write_b32 a167, v47
	;; [unrolled: 1-line block ×3, first 2 shown]
	v_fma_f64 v[40:41], s[10:11], v[38:39], v[0:1]
	v_fmac_f64_e32 v[0:1], s[12:13], v[38:39]
	v_add_f64 v[38:39], v[2:3], v[104:105]
	v_fmac_f64_e32 v[2:3], -0.5, v[42:43]
	v_add_f64 v[44:45], v[126:127], -v[106:107]
	v_add_f64 v[46:47], v[102:103], v[94:95]
	v_fma_f64 v[42:43], s[12:13], v[44:45], v[2:3]
	v_fmac_f64_e32 v[2:3], s[10:11], v[44:45]
	v_add_f64 v[44:45], v[4:5], v[102:103]
	v_fmac_f64_e32 v[4:5], -0.5, v[46:47]
	v_add_f64 v[46:47], v[92:93], -v[96:97]
	v_add_f64 v[44:45], v[44:45], v[94:95]
	;; [unrolled: 6-line block ×4, first 2 shown]
	v_fma_f64 v[96:97], s[10:11], v[94:95], v[8:9]
	v_fmac_f64_e32 v[8:9], s[12:13], v[94:95]
	v_add_f64 v[94:95], v[10:11], v[88:89]
	v_add_f64 v[94:95], v[94:95], v[84:85]
	;; [unrolled: 1-line block ×3, first 2 shown]
	v_fmac_f64_e32 v[10:11], -0.5, v[84:85]
	v_add_f64 v[84:85], v[98:99], -v[90:91]
	v_fma_f64 v[98:99], s[12:13], v[84:85], v[10:11]
	v_fmac_f64_e32 v[10:11], s[10:11], v[84:85]
	v_add_f64 v[84:85], v[12:13], v[86:87]
	v_add_f64 v[88:89], v[84:85], v[78:79]
	;; [unrolled: 1-line block ×4, first 2 shown]
	v_fmac_f64_e32 v[12:13], -0.5, v[84:85]
	v_add_f64 v[90:91], v[76:77], -v[80:81]
	v_fma_f64 v[84:85], s[10:11], v[90:91], v[12:13]
	v_fmac_f64_e32 v[12:13], s[12:13], v[90:91]
	v_add_f64 v[90:91], v[14:15], v[76:77]
	v_add_f64 v[76:77], v[76:77], v[80:81]
	v_fmac_f64_e32 v[14:15], -0.5, v[76:77]
	v_add_f64 v[76:77], v[86:87], -v[78:79]
	v_add_f64 v[78:79], v[82:83], v[74:75]
	v_fma_f64 v[86:87], s[12:13], v[76:77], v[14:15]
	v_fmac_f64_e32 v[14:15], s[10:11], v[76:77]
	v_add_f64 v[76:77], v[16:17], v[82:83]
	v_fmac_f64_e32 v[16:17], -0.5, v[78:79]
	v_add_f64 v[78:79], v[72:73], -v[68:69]
	v_add_f64 v[90:91], v[90:91], v[80:81]
	v_fma_f64 v[80:81], s[10:11], v[78:79], v[16:17]
	v_fmac_f64_e32 v[16:17], s[12:13], v[78:79]
	v_add_f64 v[78:79], v[18:19], v[72:73]
	v_add_f64 v[78:79], v[78:79], v[68:69]
	;; [unrolled: 1-line block ×3, first 2 shown]
	v_fmac_f64_e32 v[18:19], -0.5, v[68:69]
	v_add_f64 v[68:69], v[82:83], -v[74:75]
	v_fma_f64 v[82:83], s[12:13], v[68:69], v[18:19]
	v_fmac_f64_e32 v[18:19], s[10:11], v[68:69]
	v_add_f64 v[68:69], v[20:21], v[70:71]
	v_add_f64 v[72:73], v[68:69], v[66:67]
	;; [unrolled: 1-line block ×4, first 2 shown]
	v_fmac_f64_e32 v[20:21], -0.5, v[68:69]
	v_add_f64 v[74:75], v[64:65], -v[60:61]
	v_add_f64 v[36:37], v[36:37], v[106:107]
	v_add_f64 v[38:39], v[38:39], v[100:101]
	v_fma_f64 v[68:69], s[10:11], v[74:75], v[20:21]
	v_fmac_f64_e32 v[20:21], s[12:13], v[74:75]
	v_add_f64 v[74:75], v[22:23], v[64:65]
	v_add_f64 v[74:75], v[74:75], v[60:61]
	;; [unrolled: 1-line block ×3, first 2 shown]
	ds_write_b128 v110, v[36:39]
	ds_write_b128 v110, v[40:43] offset:272
	ds_write_b128 v110, v[0:3] offset:544
	v_mul_u32_u24_e32 v0, 51, v113
	v_fmac_f64_e32 v[22:23], -0.5, v[60:61]
	v_add_f64 v[60:61], v[70:71], -v[66:67]
	v_add_lshl_u32 v0, v0, v115, 4
	v_fma_f64 v[70:71], s[12:13], v[60:61], v[22:23]
	v_fmac_f64_e32 v[22:23], s[10:11], v[60:61]
	v_add_f64 v[60:61], v[24:25], v[62:63]
	ds_write_b128 v0, v[44:47]
	ds_write_b128 v0, v[48:51] offset:272
	v_accvgpr_write_b32 a179, v0
	ds_write_b128 v0, v[4:7] offset:544
	v_mul_u32_u24_e32 v0, 51, v117
	v_add_f64 v[64:65], v[60:61], v[58:59]
	v_add_f64 v[60:61], v[62:63], v[58:59]
	v_add_lshl_u32 v0, v0, v119, 4
	v_fmac_f64_e32 v[24:25], -0.5, v[60:61]
	v_add_f64 v[66:67], v[56:57], -v[52:53]
	ds_write_b128 v0, v[92:95]
	ds_write_b128 v0, v[96:99] offset:272
	v_accvgpr_write_b32 a178, v0
	ds_write_b128 v0, v[8:11] offset:544
	v_mul_u32_u24_e32 v0, 51, v121
	v_fma_f64 v[60:61], s[10:11], v[66:67], v[24:25]
	v_fmac_f64_e32 v[24:25], s[12:13], v[66:67]
	v_add_f64 v[66:67], v[26:27], v[56:57]
	v_add_lshl_u32 v0, v0, v123, 4
	v_add_f64 v[66:67], v[66:67], v[52:53]
	v_add_f64 v[52:53], v[56:57], v[52:53]
	ds_write_b128 v0, v[88:91]
	ds_write_b128 v0, v[84:87] offset:272
	v_accvgpr_write_b32 a3, v0
	ds_write_b128 v0, v[12:15] offset:544
	v_mul_u32_u24_e32 v0, 51, v125
	v_fmac_f64_e32 v[26:27], -0.5, v[52:53]
	v_add_f64 v[52:53], v[62:63], -v[58:59]
	v_add_lshl_u32 v0, v0, v142, 4
	v_fma_f64 v[62:63], s[12:13], v[52:53], v[26:27]
	v_fmac_f64_e32 v[26:27], s[10:11], v[52:53]
	v_add_f64 v[52:53], v[28:29], v[54:55]
	ds_write_b128 v0, v[76:79]
	ds_write_b128 v0, v[80:83] offset:272
	v_accvgpr_write_b32 a5, v0
	ds_write_b128 v0, v[16:19] offset:544
	v_mad_legacy_u16 v0, v143, 51, v144
	v_add_f64 v[56:57], v[52:53], v[130:131]
	v_add_f64 v[52:53], v[54:55], v[130:131]
	v_lshlrev_b32_e32 v0, 4, v0
	v_fmac_f64_e32 v[28:29], -0.5, v[52:53]
	v_add_f64 v[58:59], v[128:129], -v[132:133]
	v_add_f64 v[100:101], v[128:129], v[132:133]
	ds_write_b128 v0, v[72:75]
	ds_write_b128 v0, v[68:71] offset:272
	v_accvgpr_write_b32 a255, v0
	ds_write_b128 v0, v[20:23] offset:544
	v_mad_legacy_u16 v0, v145, 51, v146
	v_fma_f64 v[52:53], s[10:11], v[58:59], v[28:29]
	v_fmac_f64_e32 v[28:29], s[12:13], v[58:59]
	v_add_f64 v[58:59], v[30:31], v[128:129]
	v_fmac_f64_e32 v[30:31], -0.5, v[100:101]
	v_add_f64 v[100:101], v[54:55], -v[130:131]
	v_add_f64 v[102:103], v[134:135], v[138:139]
	v_lshlrev_b32_e32 v239, 4, v0
	v_mad_legacy_u16 v0, v147, 51, v148
	v_add_f64 v[58:59], v[58:59], v[132:133]
	v_fma_f64 v[54:55], s[12:13], v[100:101], v[30:31]
	v_fmac_f64_e32 v[30:31], s[10:11], v[100:101]
	v_add_f64 v[100:101], v[32:33], v[134:135]
	v_fmac_f64_e32 v[32:33], -0.5, v[102:103]
	v_add_f64 v[102:103], v[136:137], -v[140:141]
	v_add_f64 v[106:107], v[136:137], v[140:141]
	v_lshlrev_b32_e32 v0, 4, v0
	v_fma_f64 v[104:105], s[10:11], v[102:103], v[32:33]
	v_fmac_f64_e32 v[32:33], s[12:13], v[102:103]
	v_add_f64 v[102:103], v[34:35], v[136:137]
	v_fmac_f64_e32 v[34:35], -0.5, v[106:107]
	v_add_f64 v[126:127], v[134:135], -v[138:139]
	ds_write_b128 v239, v[64:67]
	ds_write_b128 v239, v[60:63] offset:272
	ds_write_b128 v239, v[24:27] offset:544
	ds_write_b128 v0, v[56:59]
	ds_write_b128 v0, v[52:55] offset:272
	scratch_store_dword off, v0, off        ; 4-byte Folded Spill
	ds_write_b128 v0, v[28:31] offset:544
	v_mad_legacy_u16 v0, v149, 51, v150
	v_add_f64 v[100:101], v[100:101], v[138:139]
	v_add_f64 v[102:103], v[102:103], v[140:141]
	v_fma_f64 v[106:107], s[12:13], v[126:127], v[34:35]
	v_fmac_f64_e32 v[34:35], s[10:11], v[126:127]
	v_lshlrev_b32_e32 v0, 4, v0
	v_lshlrev_b32_e32 v110, 7, v238
	ds_write_b128 v0, v[100:103]
	ds_write_b128 v0, v[104:107] offset:272
	v_accvgpr_write_b32 a254, v0
	ds_write_b128 v0, v[32:35] offset:544
	s_waitcnt lgkmcnt(0)
	; wave barrier
	s_waitcnt lgkmcnt(0)
	ds_read_b128 v[16:19], v160
	ds_read_b128 v[104:107], v160 offset:2448
	ds_read_b128 v[100:103], v160 offset:4896
	;; [unrolled: 1-line block ×26, first 2 shown]
	global_load_dwordx4 v[180:183], v110, s[8:9] offset:592
	global_load_dwordx4 v[184:187], v110, s[8:9] offset:576
	;; [unrolled: 1-line block ×8, first 2 shown]
	s_waitcnt vmcnt(7) lgkmcnt(14)
	v_mul_f64 v[130:131], v[92:93], v[182:183]
	s_waitcnt vmcnt(6)
	v_mul_f64 v[148:149], v[96:97], v[186:187]
	s_waitcnt vmcnt(5)
	;; [unrolled: 2-line block ×3, first 2 shown]
	v_mul_f64 v[126:127], v[106:107], v[194:195]
	v_fma_f64 v[232:233], v[104:105], v[192:193], -v[126:127]
	v_mul_f64 v[158:159], v[104:105], v[194:195]
	v_mul_f64 v[104:105], v[102:103], v[190:191]
	v_fma_f64 v[154:155], v[100:101], v[188:189], -v[104:105]
	v_mul_f64 v[100:101], v[98:99], v[186:187]
	v_fma_f64 v[150:151], v[96:97], v[184:185], -v[100:101]
	;; [unrolled: 2-line block ×3, first 2 shown]
	s_waitcnt vmcnt(0)
	v_mul_f64 v[92:93], v[90:91], v[198:199]
	v_fma_f64 v[146:147], v[88:89], v[196:197], -v[92:93]
	v_mul_f64 v[140:141], v[88:89], v[198:199]
	v_mul_f64 v[88:89], v[86:87], v[178:179]
	v_fma_f64 v[164:165], v[84:85], v[176:177], -v[88:89]
	v_mul_f64 v[162:163], v[84:85], v[178:179]
	;; [unrolled: 3-line block ×4, first 2 shown]
	v_mul_f64 v[76:77], v[74:75], v[194:195]
	v_fmac_f64_e32 v[148:149], v[98:99], v[184:185]
	v_fma_f64 v[98:99], v[72:73], v[192:193], -v[76:77]
	v_mul_f64 v[96:97], v[72:73], v[194:195]
	v_mul_f64 v[72:73], v[70:71], v[190:191]
	v_fmac_f64_e32 v[130:131], v[94:95], v[180:181]
	v_fma_f64 v[94:95], v[68:69], v[188:189], -v[72:73]
	v_mul_f64 v[92:93], v[68:69], v[190:191]
	;; [unrolled: 4-line block ×3, first 2 shown]
	s_waitcnt lgkmcnt(13)
	v_mul_f64 v[64:65], v[62:63], v[182:183]
	v_fmac_f64_e32 v[92:93], v[70:71], v[188:189]
	v_fma_f64 v[68:69], v[60:61], v[180:181], -v[64:65]
	v_mul_f64 v[70:71], v[60:61], v[182:183]
	s_waitcnt lgkmcnt(12)
	v_mul_f64 v[60:61], v[58:59], v[198:199]
	v_fmac_f64_e32 v[88:89], v[66:67], v[184:185]
	v_fma_f64 v[66:67], v[56:57], v[196:197], -v[60:61]
	v_mul_f64 v[64:65], v[56:57], v[198:199]
	s_waitcnt lgkmcnt(11)
	v_mul_f64 v[56:57], v[54:55], v[178:179]
	v_fma_f64 v[126:127], v[52:53], v[176:177], -v[56:57]
	v_mul_f64 v[52:53], v[52:53], v[178:179]
	v_fmac_f64_e32 v[52:53], v[54:55], v[176:177]
	s_waitcnt lgkmcnt(10)
	v_mul_f64 v[54:55], v[50:51], v[174:175]
	v_fma_f64 v[54:55], v[48:49], v[172:173], -v[54:55]
	v_mul_f64 v[48:49], v[48:49], v[174:175]
	v_fmac_f64_e32 v[48:49], v[50:51], v[172:173]
	;; [unrolled: 5-line block ×3, first 2 shown]
	v_mul_lo_u16_sdwa v46, v124, s0 dst_sel:DWORD dst_unused:UNUSED_PAD src0_sel:BYTE_0 src1_sel:DWORD
	v_lshrrev_b16_e32 v46, 13, v46
	v_mul_lo_u16_e32 v46, 51, v46
	v_sub_u16_e32 v110, v124, v46
	v_mov_b32_e32 v46, 7
	v_lshlrev_b32_sdwa v56, v46, v110 dst_sel:DWORD dst_unused:UNUSED_PAD src0_sel:DWORD src1_sel:BYTE_0
	v_fmac_f64_e32 v[166:167], v[82:83], v[172:173]
	v_fmac_f64_e32 v[202:203], v[78:79], v[168:169]
	;; [unrolled: 1-line block ×4, first 2 shown]
	global_load_dwordx4 v[58:61], v56, s[8:9] offset:592
	global_load_dwordx4 v[72:75], v56, s[8:9] offset:576
	;; [unrolled: 1-line block ×4, first 2 shown]
	v_fmac_f64_e32 v[162:163], v[86:87], v[176:177]
	v_fmac_f64_e32 v[152:153], v[102:103], v[188:189]
	v_fmac_f64_e32 v[158:159], v[106:107], v[192:193]
	v_fmac_f64_e32 v[70:71], v[62:63], v[180:181]
	v_add_f64 v[62:63], v[232:233], -v[204:205]
	s_mov_b32 s0, 0x42522d1b
	s_mov_b32 s1, 0xbfee11f6
	s_waitcnt vmcnt(3) lgkmcnt(4)
	v_mul_f64 v[102:103], v[28:29], v[60:61]
	v_accvgpr_write_b32 a185, v61
	s_waitcnt vmcnt(1)
	v_accvgpr_write_b32 a193, v79
	s_waitcnt vmcnt(0)
	v_mul_f64 v[46:47], v[42:43], v[82:83]
	v_fma_f64 v[86:87], v[40:41], v[80:81], -v[46:47]
	v_mul_f64 v[84:85], v[40:41], v[82:83]
	v_accvgpr_write_b32 a197, v83
	v_mul_f64 v[40:41], v[38:39], v[78:79]
	v_accvgpr_write_b32 a196, v82
	v_accvgpr_write_b32 a195, v81
	v_accvgpr_write_b32 a194, v80
	v_fmac_f64_e32 v[84:85], v[42:43], v[80:81]
	v_fma_f64 v[82:83], v[36:37], v[76:77], -v[40:41]
	v_mul_f64 v[80:81], v[36:37], v[78:79]
	v_mul_f64 v[36:37], v[34:35], v[74:75]
	v_accvgpr_write_b32 a192, v78
	v_accvgpr_write_b32 a191, v77
	;; [unrolled: 1-line block ×3, first 2 shown]
	v_fmac_f64_e32 v[80:81], v[38:39], v[76:77]
	v_fma_f64 v[78:79], v[32:33], v[72:73], -v[36:37]
	v_mul_f64 v[76:77], v[32:33], v[74:75]
	v_mul_f64 v[32:33], v[30:31], v[60:61]
	v_fmac_f64_e32 v[76:77], v[34:35], v[72:73]
	v_fma_f64 v[100:101], v[28:29], v[58:59], -v[32:33]
	v_accvgpr_write_b32 a184, v60
	v_accvgpr_write_b32 a183, v59
	;; [unrolled: 1-line block ×3, first 2 shown]
	v_fmac_f64_e32 v[102:103], v[30:31], v[58:59]
	global_load_dwordx4 v[30:33], v56, s[8:9] offset:656
	global_load_dwordx4 v[34:37], v56, s[8:9] offset:640
	;; [unrolled: 1-line block ×3, first 2 shown]
	s_nop 0
	global_load_dwordx4 v[56:59], v56, s[8:9] offset:608
	v_accvgpr_write_b32 a189, v75
	v_accvgpr_write_b32 a188, v74
	;; [unrolled: 1-line block ×4, first 2 shown]
	v_add_f64 v[72:73], v[158:159], -v[202:203]
	v_add_f64 v[46:47], v[152:153], v[166:167]
	v_add_f64 v[152:153], v[152:153], -v[166:167]
	v_add_f64 v[42:43], v[150:151], v[164:165]
	v_add_f64 v[74:75], v[154:155], -v[200:201]
	v_add_f64 v[150:151], v[150:151], -v[164:165]
	v_add_f64 v[60:61], v[128:129], v[146:147]
	s_waitcnt lgkmcnt(0)
	; wave barrier
	s_waitcnt vmcnt(3) lgkmcnt(0)
	v_mul_f64 v[142:143], v[8:9], v[32:33]
	s_waitcnt vmcnt(2)
	v_mul_f64 v[136:137], v[12:13], v[36:37]
	s_waitcnt vmcnt(1)
	;; [unrolled: 2-line block ×3, first 2 shown]
	v_mul_f64 v[28:29], v[26:27], v[58:59]
	v_fma_f64 v[106:107], v[24:25], v[56:57], -v[28:29]
	v_mul_f64 v[104:105], v[24:25], v[58:59]
	v_mul_f64 v[24:25], v[22:23], v[40:41]
	v_fma_f64 v[134:135], v[20:21], v[38:39], -v[24:25]
	v_accvgpr_write_b32 a209, v41
	v_mul_f64 v[20:21], v[14:15], v[36:37]
	v_accvgpr_write_b32 a213, v59
	v_accvgpr_write_b32 a208, v40
	;; [unrolled: 1-line block ×4, first 2 shown]
	v_fmac_f64_e32 v[132:133], v[22:23], v[38:39]
	v_fma_f64 v[138:139], v[12:13], v[34:35], -v[20:21]
	v_accvgpr_write_b32 a205, v37
	v_mul_f64 v[12:13], v[10:11], v[32:33]
	v_add_f64 v[38:39], v[232:233], v[204:205]
	v_accvgpr_write_b32 a212, v58
	v_accvgpr_write_b32 a211, v57
	;; [unrolled: 1-line block ×3, first 2 shown]
	v_fmac_f64_e32 v[104:105], v[26:27], v[56:57]
	v_accvgpr_write_b32 a204, v36
	v_accvgpr_write_b32 a203, v35
	;; [unrolled: 1-line block ×3, first 2 shown]
	v_fma_f64 v[144:145], v[8:9], v[30:31], -v[12:13]
	v_fmac_f64_e32 v[142:143], v[10:11], v[30:31]
	v_add_f64 v[36:37], v[158:159], v[202:203]
	v_add_f64 v[56:57], v[154:155], v[200:201]
	v_mul_f64 v[10:11], v[72:73], s[28:29]
	v_fma_f64 v[8:9], s[16:17], v[38:39], v[16:17]
	v_fmac_f64_e32 v[136:137], v[14:15], v[34:35]
	v_add_f64 v[40:41], v[148:149], v[162:163]
	v_add_f64 v[148:149], v[148:149], -v[162:163]
	v_mul_f64 v[12:13], v[62:63], s[28:29]
	v_fmac_f64_e32 v[10:11], s[20:21], v[152:153]
	v_fma_f64 v[14:15], s[16:17], v[36:37], v[18:19]
	v_fmac_f64_e32 v[8:9], s[14:15], v[56:57]
	v_fmac_f64_e32 v[12:13], s[20:21], v[74:75]
	;; [unrolled: 1-line block ×3, first 2 shown]
	v_add_f64 v[158:159], v[130:131], -v[140:141]
	v_fmac_f64_e32 v[14:15], s[14:15], v[46:47]
	v_fmac_f64_e32 v[8:9], -0.5, v[42:43]
	v_accvgpr_write_b32 a201, v33
	v_fmac_f64_e32 v[12:13], s[18:19], v[150:151]
	v_add_f64 v[154:155], v[128:129], -v[146:147]
	v_fmac_f64_e32 v[10:11], s[22:23], v[158:159]
	v_fmac_f64_e32 v[14:15], -0.5, v[40:41]
	v_add_f64 v[58:59], v[130:131], v[140:141]
	v_fmac_f64_e32 v[8:9], s[0:1], v[60:61]
	v_accvgpr_write_b32 a200, v32
	v_accvgpr_write_b32 a199, v31
	;; [unrolled: 1-line block ×3, first 2 shown]
	v_fmac_f64_e32 v[12:13], s[22:23], v[154:155]
	v_fmac_f64_e32 v[14:15], s[0:1], v[58:59]
	v_add_f64 v[32:33], v[10:11], v[8:9]
	v_add_f64 v[34:35], v[14:15], -v[12:13]
	v_mov_b64_e32 v[8:9], v[32:33]
	v_fmac_f64_e32 v[8:9], -2.0, v[10:11]
	v_mov_b64_e32 v[10:11], v[34:35]
	v_fmac_f64_e32 v[10:11], 2.0, v[12:13]
	v_mul_f64 v[14:15], v[158:159], s[24:25]
	v_fma_f64 v[12:13], s[16:17], v[60:61], v[16:17]
	v_mul_f64 v[20:21], v[154:155], s[24:25]
	v_fmac_f64_e32 v[14:15], s[20:21], v[72:73]
	v_fma_f64 v[22:23], s[16:17], v[58:59], v[18:19]
	v_fmac_f64_e32 v[12:13], s[14:15], v[38:39]
	v_fmac_f64_e32 v[20:21], s[20:21], v[62:63]
	;; [unrolled: 1-line block ×4, first 2 shown]
	v_fmac_f64_e32 v[12:13], -0.5, v[42:43]
	v_fmac_f64_e32 v[20:21], s[26:27], v[150:151]
	v_fmac_f64_e32 v[14:15], s[22:23], v[152:153]
	v_fmac_f64_e32 v[22:23], -0.5, v[40:41]
	v_fmac_f64_e32 v[12:13], s[0:1], v[56:57]
	v_fmac_f64_e32 v[20:21], s[22:23], v[74:75]
	;; [unrolled: 1-line block ×3, first 2 shown]
	v_add_f64 v[28:29], v[14:15], v[12:13]
	v_add_f64 v[30:31], v[22:23], -v[20:21]
	v_mov_b64_e32 v[12:13], v[28:29]
	v_fmac_f64_e32 v[12:13], -2.0, v[14:15]
	v_mov_b64_e32 v[14:15], v[30:31]
	v_fmac_f64_e32 v[14:15], 2.0, v[20:21]
	v_add_f64 v[20:21], v[154:155], v[62:63]
	v_mul_f64 v[154:155], v[154:155], s[20:21]
	v_add_f64 v[22:23], v[158:159], v[72:73]
	v_mul_f64 v[158:159], v[158:159], s[20:21]
	v_fma_f64 v[154:155], v[74:75], s[24:25], -v[154:155]
	v_add_f64 v[164:165], v[22:23], -v[152:153]
	v_add_f64 v[166:167], v[56:57], v[38:39]
	v_fma_f64 v[152:153], v[152:153], s[24:25], -v[158:159]
	v_fmac_f64_e32 v[154:155], s[18:19], v[150:151]
	v_add_f64 v[200:201], v[46:47], v[36:37]
	v_fmac_f64_e32 v[152:153], s[18:19], v[148:149]
	v_fmac_f64_e32 v[154:155], s[22:23], v[62:63]
	v_add_f64 v[62:63], v[42:43], v[166:167]
	v_fmac_f64_e32 v[152:153], s[22:23], v[72:73]
	v_add_f64 v[72:73], v[40:41], v[200:201]
	v_add_f64 v[62:63], v[128:129], v[62:63]
	;; [unrolled: 1-line block ×4, first 2 shown]
	v_add_f64 v[24:25], v[20:21], -v[74:75]
	v_add_f64 v[20:21], v[16:17], v[42:43]
	v_add_f64 v[74:75], v[140:141], v[72:73]
	;; [unrolled: 1-line block ×3, first 2 shown]
	v_fmac_f64_e32 v[16:17], s[16:17], v[56:57]
	v_add_f64 v[22:23], v[18:19], v[40:41]
	v_add_f64 v[74:75], v[18:19], v[74:75]
	v_fmac_f64_e32 v[18:19], s[16:17], v[46:47]
	v_fmac_f64_e32 v[16:17], s[14:15], v[60:61]
	;; [unrolled: 1-line block ×3, first 2 shown]
	v_fmac_f64_e32 v[16:17], -0.5, v[42:43]
	v_fmac_f64_e32 v[18:19], -0.5, v[40:41]
	v_fmac_f64_e32 v[16:17], s[0:1], v[38:39]
	v_add_f64 v[202:203], v[60:61], v[166:167]
	v_fmac_f64_e32 v[18:19], s[0:1], v[36:37]
	v_add_f64 v[60:61], v[152:153], v[16:17]
	v_add_f64 v[130:131], v[98:99], v[50:51]
	;; [unrolled: 1-line block ×3, first 2 shown]
	v_add_f64 v[96:97], v[96:97], -v[44:45]
	v_add_f64 v[62:63], v[18:19], -v[154:155]
	v_mov_b64_e32 v[56:57], v[60:61]
	v_add_f64 v[150:151], v[94:95], v[54:55]
	v_add_f64 v[148:149], v[92:93], v[48:49]
	v_add_f64 v[98:99], v[98:99], -v[50:51]
	v_add_f64 v[92:93], v[92:93], -v[48:49]
	v_mul_f64 v[18:19], v[96:97], s[28:29]
	v_fma_f64 v[16:17], s[16:17], v[130:131], v[4:5]
	v_fmac_f64_e32 v[56:57], -2.0, v[152:153]
	v_add_f64 v[146:147], v[90:91], v[126:127]
	v_add_f64 v[94:95], v[94:95], -v[54:55]
	v_add_f64 v[152:153], v[88:89], -v[52:53]
	v_mul_f64 v[36:37], v[98:99], s[28:29]
	v_fmac_f64_e32 v[18:19], s[20:21], v[92:93]
	v_fma_f64 v[38:39], s[16:17], v[128:129], v[6:7]
	v_fmac_f64_e32 v[16:17], s[14:15], v[150:151]
	v_add_f64 v[204:205], v[58:59], v[200:201]
	v_mov_b64_e32 v[58:59], v[62:63]
	v_add_f64 v[140:141], v[88:89], v[52:53]
	v_add_f64 v[126:127], v[90:91], -v[126:127]
	v_fmac_f64_e32 v[36:37], s[20:21], v[94:95]
	v_fmac_f64_e32 v[18:19], s[18:19], v[152:153]
	v_add_f64 v[158:159], v[70:71], -v[64:65]
	v_fmac_f64_e32 v[38:39], s[14:15], v[148:149]
	v_fmac_f64_e32 v[16:17], -0.5, v[146:147]
	v_add_f64 v[90:91], v[68:69], v[66:67]
	v_fmac_f64_e32 v[58:59], 2.0, v[154:155]
	v_fmac_f64_e32 v[36:37], s[18:19], v[126:127]
	v_add_f64 v[154:155], v[68:69], -v[66:67]
	v_fmac_f64_e32 v[18:19], s[22:23], v[158:159]
	v_fmac_f64_e32 v[38:39], -0.5, v[140:141]
	v_add_f64 v[88:89], v[70:71], v[64:65]
	v_fmac_f64_e32 v[16:17], s[0:1], v[90:91]
	v_fmac_f64_e32 v[36:37], s[22:23], v[154:155]
	;; [unrolled: 1-line block ×3, first 2 shown]
	v_add_f64 v[40:41], v[18:19], v[16:17]
	v_add_f64 v[42:43], v[38:39], -v[36:37]
	v_mov_b64_e32 v[16:17], v[40:41]
	v_fmac_f64_e32 v[16:17], -2.0, v[18:19]
	v_mov_b64_e32 v[18:19], v[42:43]
	v_fmac_f64_e32 v[18:19], 2.0, v[36:37]
	v_mul_f64 v[38:39], v[158:159], s[24:25]
	v_fma_f64 v[36:37], s[16:17], v[90:91], v[4:5]
	v_mul_f64 v[48:49], v[154:155], s[24:25]
	v_fmac_f64_e32 v[38:39], s[20:21], v[96:97]
	v_fma_f64 v[46:47], s[16:17], v[88:89], v[6:7]
	v_fmac_f64_e32 v[36:37], s[14:15], v[130:131]
	v_fmac_f64_e32 v[48:49], s[20:21], v[98:99]
	;; [unrolled: 1-line block ×4, first 2 shown]
	v_fmac_f64_e32 v[36:37], -0.5, v[146:147]
	v_fmac_f64_e32 v[48:49], s[26:27], v[126:127]
	v_fmac_f64_e32 v[38:39], s[22:23], v[92:93]
	v_fmac_f64_e32 v[46:47], -0.5, v[140:141]
	v_fmac_f64_e32 v[36:37], s[0:1], v[150:151]
	v_fmac_f64_e32 v[48:49], s[22:23], v[94:95]
	;; [unrolled: 1-line block ×3, first 2 shown]
	v_add_f64 v[44:45], v[38:39], v[36:37]
	v_add_f64 v[46:47], v[46:47], -v[48:49]
	v_mov_b64_e32 v[36:37], v[44:45]
	v_fmac_f64_e32 v[36:37], -2.0, v[38:39]
	v_mov_b64_e32 v[38:39], v[46:47]
	v_fmac_f64_e32 v[38:39], 2.0, v[48:49]
	v_add_f64 v[48:49], v[154:155], v[98:99]
	v_add_f64 v[50:51], v[158:159], v[96:97]
	v_mul_f64 v[154:155], v[154:155], s[20:21]
	v_mul_f64 v[158:159], v[158:159], s[20:21]
	v_add_f64 v[52:53], v[48:49], -v[94:95]
	v_add_f64 v[54:55], v[50:51], -v[92:93]
	v_fma_f64 v[94:95], v[94:95], s[24:25], -v[154:155]
	v_fma_f64 v[92:93], v[92:93], s[24:25], -v[158:159]
	v_add_f64 v[166:167], v[150:151], v[130:131]
	v_add_f64 v[200:201], v[148:149], v[128:129]
	v_fmac_f64_e32 v[94:95], s[18:19], v[126:127]
	v_fmac_f64_e32 v[92:93], s[18:19], v[152:153]
	;; [unrolled: 1-line block ×4, first 2 shown]
	v_add_f64 v[96:97], v[146:147], v[166:167]
	v_add_f64 v[98:99], v[140:141], v[200:201]
	;; [unrolled: 1-line block ×9, first 2 shown]
	v_fmac_f64_e32 v[6:7], s[16:17], v[148:149]
	v_add_f64 v[48:49], v[4:5], v[146:147]
	v_fmac_f64_e32 v[4:5], s[16:17], v[150:151]
	v_fmac_f64_e32 v[6:7], s[14:15], v[88:89]
	;; [unrolled: 1-line block ×3, first 2 shown]
	v_fmac_f64_e32 v[6:7], -0.5, v[140:141]
	v_fmac_f64_e32 v[4:5], -0.5, v[146:147]
	v_fmac_f64_e32 v[6:7], s[0:1], v[128:129]
	v_add_f64 v[128:129], v[86:87], v[144:145]
	v_add_f64 v[126:127], v[84:85], v[142:143]
	v_add_f64 v[142:143], v[84:85], -v[142:143]
	v_fmac_f64_e32 v[4:5], s[0:1], v[130:131]
	v_add_f64 v[148:149], v[82:83], v[138:139]
	v_add_f64 v[146:147], v[80:81], v[136:137]
	;; [unrolled: 1-line block ×4, first 2 shown]
	v_add_f64 v[144:145], v[86:87], -v[144:145]
	v_add_f64 v[136:137], v[80:81], -v[136:137]
	v_add_f64 v[150:151], v[78:79], -v[134:135]
	v_add_f64 v[152:153], v[76:77], -v[132:133]
	v_mul_f64 v[78:79], v[142:143], s[28:29]
	v_fma_f64 v[76:77], s[16:17], v[128:129], v[0:1]
	v_add_f64 v[138:139], v[82:83], -v[138:139]
	v_mul_f64 v[80:81], v[144:145], s[28:29]
	v_fmac_f64_e32 v[78:79], s[20:21], v[136:137]
	v_fma_f64 v[82:83], s[16:17], v[126:127], v[2:3]
	v_fmac_f64_e32 v[76:77], s[14:15], v[148:149]
	v_fmac_f64_e32 v[80:81], s[20:21], v[138:139]
	;; [unrolled: 1-line block ×3, first 2 shown]
	v_add_f64 v[158:159], v[102:103], -v[104:105]
	v_fmac_f64_e32 v[82:83], s[14:15], v[146:147]
	v_fmac_f64_e32 v[76:77], -0.5, v[140:141]
	v_add_f64 v[134:135], v[100:101], v[106:107]
	v_fmac_f64_e32 v[80:81], s[18:19], v[150:151]
	v_add_f64 v[154:155], v[100:101], -v[106:107]
	v_fmac_f64_e32 v[78:79], s[22:23], v[158:159]
	v_fmac_f64_e32 v[82:83], -0.5, v[130:131]
	v_add_f64 v[132:133], v[102:103], v[104:105]
	v_fmac_f64_e32 v[76:77], s[0:1], v[134:135]
	v_fmac_f64_e32 v[80:81], s[22:23], v[154:155]
	;; [unrolled: 1-line block ×3, first 2 shown]
	v_add_f64 v[84:85], v[78:79], v[76:77]
	v_add_f64 v[86:87], v[82:83], -v[80:81]
	v_mov_b64_e32 v[76:77], v[84:85]
	v_add_f64 v[68:69], v[92:93], v[4:5]
	v_fmac_f64_e32 v[76:77], -2.0, v[78:79]
	v_mov_b64_e32 v[78:79], v[86:87]
	v_mov_b64_e32 v[4:5], v[68:69]
	v_fmac_f64_e32 v[78:79], 2.0, v[80:81]
	v_mul_f64 v[82:83], v[158:159], s[24:25]
	v_fma_f64 v[80:81], s[16:17], v[134:135], v[0:1]
	v_fmac_f64_e32 v[20:21], -0.5, v[202:203]
	v_add_f64 v[202:203], v[90:91], v[166:167]
	v_fmac_f64_e32 v[4:5], -2.0, v[92:93]
	v_mul_f64 v[92:93], v[154:155], s[24:25]
	v_fmac_f64_e32 v[82:83], s[20:21], v[142:143]
	v_fma_f64 v[90:91], s[16:17], v[132:133], v[2:3]
	v_fmac_f64_e32 v[80:81], s[14:15], v[128:129]
	v_fmac_f64_e32 v[92:93], s[20:21], v[144:145]
	;; [unrolled: 1-line block ×4, first 2 shown]
	v_fmac_f64_e32 v[80:81], -0.5, v[140:141]
	v_fmac_f64_e32 v[92:93], s[26:27], v[150:151]
	v_fmac_f64_e32 v[82:83], s[22:23], v[136:137]
	v_fmac_f64_e32 v[90:91], -0.5, v[130:131]
	v_fmac_f64_e32 v[80:81], s[0:1], v[148:149]
	v_fmac_f64_e32 v[22:23], -0.5, v[204:205]
	v_add_f64 v[204:205], v[88:89], v[200:201]
	v_fmac_f64_e32 v[92:93], s[22:23], v[138:139]
	v_fmac_f64_e32 v[90:91], s[0:1], v[146:147]
	v_add_f64 v[88:89], v[82:83], v[80:81]
	v_add_f64 v[70:71], v[6:7], -v[94:95]
	v_add_f64 v[90:91], v[90:91], -v[92:93]
	v_mov_b64_e32 v[80:81], v[88:89]
	v_mov_b64_e32 v[6:7], v[70:71]
	v_fmac_f64_e32 v[80:81], -2.0, v[82:83]
	v_mov_b64_e32 v[82:83], v[90:91]
	v_fmac_f64_e32 v[6:7], 2.0, v[94:95]
	v_fmac_f64_e32 v[82:83], 2.0, v[92:93]
	v_add_f64 v[92:93], v[154:155], v[144:145]
	v_add_f64 v[94:95], v[158:159], v[142:143]
	v_mul_f64 v[154:155], v[154:155], s[20:21]
	v_mul_f64 v[158:159], v[158:159], s[20:21]
	v_add_f64 v[96:97], v[92:93], -v[138:139]
	v_add_f64 v[98:99], v[94:95], -v[136:137]
	v_fma_f64 v[138:139], v[138:139], s[24:25], -v[154:155]
	v_fma_f64 v[136:137], v[136:137], s[24:25], -v[158:159]
	v_add_f64 v[166:167], v[148:149], v[128:129]
	v_add_f64 v[200:201], v[146:147], v[126:127]
	v_fmac_f64_e32 v[138:139], s[18:19], v[150:151]
	v_fmac_f64_e32 v[136:137], s[18:19], v[152:153]
	;; [unrolled: 1-line block ×4, first 2 shown]
	v_add_f64 v[142:143], v[140:141], v[166:167]
	v_add_f64 v[144:145], v[130:131], v[200:201]
	;; [unrolled: 1-line block ×4, first 2 shown]
	v_fmac_f64_e32 v[20:21], s[18:19], v[164:165]
	v_add_f64 v[100:101], v[106:107], v[100:101]
	v_add_f64 v[102:103], v[104:105], v[102:103]
	v_mul_f64 v[162:163], v[24:25], s[18:19]
	v_mul_f64 v[26:27], v[164:165], s[18:19]
	v_fmac_f64_e32 v[22:23], s[26:27], v[24:25]
	v_mov_b64_e32 v[24:25], v[20:21]
	v_fmac_f64_e32 v[48:49], -0.5, v[202:203]
	v_fmac_f64_e32 v[50:51], -0.5, v[204:205]
	v_add_f64 v[92:93], v[0:1], v[140:141]
	v_add_f64 v[94:95], v[2:3], v[130:131]
	;; [unrolled: 1-line block ×4, first 2 shown]
	v_fmac_f64_e32 v[0:1], s[16:17], v[148:149]
	v_fmac_f64_e32 v[2:3], s[16:17], v[146:147]
	v_fmac_f64_e32 v[24:25], -2.0, v[26:27]
	v_mov_b64_e32 v[26:27], v[22:23]
	v_fmac_f64_e32 v[48:49], s[18:19], v[54:55]
	v_fmac_f64_e32 v[50:51], s[26:27], v[52:53]
	;; [unrolled: 1-line block ×4, first 2 shown]
	v_fmac_f64_e32 v[26:27], 2.0, v[162:163]
	v_mul_f64 v[162:163], v[52:53], s[18:19]
	v_mul_f64 v[164:165], v[54:55], s[18:19]
	v_mov_b64_e32 v[52:53], v[48:49]
	v_mov_b64_e32 v[54:55], v[50:51]
	v_add_f64 v[202:203], v[134:135], v[166:167]
	v_add_f64 v[204:205], v[132:133], v[200:201]
	v_fmac_f64_e32 v[0:1], -0.5, v[140:141]
	v_fmac_f64_e32 v[2:3], -0.5, v[130:131]
	;; [unrolled: 1-line block ×3, first 2 shown]
	v_fmac_f64_e32 v[54:55], 2.0, v[162:163]
	v_fmac_f64_e32 v[92:93], -0.5, v[202:203]
	v_fmac_f64_e32 v[94:95], -0.5, v[204:205]
	v_fmac_f64_e32 v[0:1], s[0:1], v[128:129]
	v_fmac_f64_e32 v[2:3], s[0:1], v[126:127]
	ds_write_b128 v160, v[72:75]
	ds_write_b128 v160, v[32:35] offset:816
	ds_write_b128 v160, v[28:31] offset:1632
	;; [unrolled: 1-line block ×17, first 2 shown]
	v_lshlrev_b32_sdwa v4, v109, v110 dst_sel:DWORD dst_unused:UNUSED_PAD src0_sel:DWORD src1_sel:BYTE_0
	v_lshlrev_b32_e32 v110, 5, v238
	v_fmac_f64_e32 v[92:93], s[18:19], v[98:99]
	v_fmac_f64_e32 v[94:95], s[26:27], v[96:97]
	v_add_f64 v[104:105], v[136:137], v[0:1]
	v_add_f64 v[106:107], v[2:3], -v[138:139]
	v_lshl_add_u64 v[126:127], s[8:9], 0, v[110:111]
	s_mov_b64 s[14:15], 0x1ba0
	s_movk_i32 s16, 0x1000
	v_mul_f64 v[162:163], v[96:97], s[18:19]
	v_mul_f64 v[164:165], v[98:99], s[18:19]
	v_mov_b64_e32 v[96:97], v[92:93]
	v_mov_b64_e32 v[98:99], v[94:95]
	;; [unrolled: 1-line block ×4, first 2 shown]
	v_lshl_add_u64 v[128:129], v[126:127], 0, s[14:15]
	v_add_co_u32_e64 v126, s[0:1], s16, v126
	v_fmac_f64_e32 v[96:97], -2.0, v[164:165]
	v_fmac_f64_e32 v[98:99], 2.0, v[162:163]
	v_fmac_f64_e32 v[0:1], -2.0, v[136:137]
	v_fmac_f64_e32 v[2:3], 2.0, v[138:139]
	v_addc_co_u32_e64 v127, s[0:1], 0, v127, s[0:1]
	ds_write_b128 v4, v[100:103] offset:14688
	ds_write_b128 v4, v[84:87] offset:15504
	;; [unrolled: 1-line block ×8, first 2 shown]
	v_accvgpr_write_b32 a181, v4
	ds_write_b128 v4, v[76:79] offset:21216
	s_waitcnt lgkmcnt(0)
	; wave barrier
	s_waitcnt lgkmcnt(0)
	ds_read_b128 v[104:107], v160
	ds_read_b128 v[84:87], v160 offset:7344
	ds_read_b128 v[80:83], v160 offset:14688
	;; [unrolled: 1-line block ×26, first 2 shown]
	global_load_dwordx4 v[132:135], v[126:127], off offset:2976
	s_nop 0
	global_load_dwordx4 v[128:131], v[128:129], off offset:16
	v_lshlrev_b32_e32 v110, 5, v108
	s_waitcnt vmcnt(1) lgkmcnt(14)
	v_mul_f64 v[126:127], v[86:87], v[134:135]
	v_fma_f64 v[126:127], v[84:85], v[132:133], -v[126:127]
	v_mul_f64 v[84:85], v[84:85], v[134:135]
	v_fmac_f64_e32 v[84:85], v[86:87], v[132:133]
	s_waitcnt vmcnt(0)
	v_mul_f64 v[86:87], v[82:83], v[130:131]
	v_fma_f64 v[86:87], v[80:81], v[128:129], -v[86:87]
	v_mul_f64 v[80:81], v[80:81], v[130:131]
	v_fmac_f64_e32 v[80:81], v[82:83], v[128:129]
	v_lshl_add_u64 v[82:83], s[8:9], 0, v[110:111]
	v_lshl_add_u64 v[108:109], v[82:83], 0, s[14:15]
	v_add_co_u32_e64 v82, s[0:1], s16, v82
	v_accvgpr_write_b32 a221, v135
	v_accvgpr_write_b32 a217, v131
	v_addc_co_u32_e64 v83, s[0:1], 0, v83, s[0:1]
	v_accvgpr_write_b32 a220, v134
	v_accvgpr_write_b32 a219, v133
	;; [unrolled: 1-line block ×6, first 2 shown]
	global_load_dwordx4 v[132:135], v[82:83], off offset:2976
	global_load_dwordx4 v[128:131], v[108:109], off offset:16
	v_lshlrev_b32_e32 v110, 5, v124
	s_waitcnt vmcnt(1)
	v_mul_f64 v[82:83], v[78:79], v[134:135]
	v_fma_f64 v[82:83], v[76:77], v[132:133], -v[82:83]
	v_mul_f64 v[76:77], v[76:77], v[134:135]
	v_fmac_f64_e32 v[76:77], v[78:79], v[132:133]
	s_waitcnt vmcnt(0)
	v_mul_f64 v[78:79], v[74:75], v[130:131]
	v_fma_f64 v[78:79], v[72:73], v[128:129], -v[78:79]
	v_mul_f64 v[72:73], v[72:73], v[130:131]
	v_fmac_f64_e32 v[72:73], v[74:75], v[128:129]
	v_lshl_add_u64 v[74:75], s[8:9], 0, v[110:111]
	v_lshl_add_u64 v[108:109], v[74:75], 0, s[14:15]
	v_add_co_u32_e64 v74, s[0:1], s16, v74
	v_accvgpr_write_b32 a229, v135
	v_accvgpr_write_b32 a225, v131
	v_addc_co_u32_e64 v75, s[0:1], 0, v75, s[0:1]
	v_accvgpr_write_b32 a228, v134
	v_accvgpr_write_b32 a227, v133
	;; [unrolled: 1-line block ×6, first 2 shown]
	global_load_dwordx4 v[134:137], v[74:75], off offset:2976
	global_load_dwordx4 v[130:133], v[108:109], off offset:16
	v_lshlrev_b32_e32 v110, 5, v122
	s_waitcnt vmcnt(1)
	v_mul_f64 v[74:75], v[6:7], v[136:137]
	v_fma_f64 v[74:75], v[4:5], v[134:135], -v[74:75]
	v_mul_f64 v[108:109], v[4:5], v[136:137]
	s_waitcnt vmcnt(0)
	v_mul_f64 v[4:5], v[2:3], v[132:133]
	v_fma_f64 v[124:125], v[0:1], v[130:131], -v[4:5]
	v_mul_f64 v[128:129], v[0:1], v[132:133]
	v_lshl_add_u64 v[0:1], s[8:9], 0, v[110:111]
	v_lshl_add_u64 v[4:5], v[0:1], 0, s[14:15]
	v_add_co_u32_e64 v0, s[0:1], s16, v0
	v_fmac_f64_e32 v[108:109], v[6:7], v[134:135]
	s_nop 0
	v_addc_co_u32_e64 v1, s[0:1], 0, v1, s[0:1]
	v_fmac_f64_e32 v[128:129], v[2:3], v[130:131]
	global_load_dwordx4 v[0:3], v[0:1], off offset:2976
	s_nop 0
	global_load_dwordx4 v[4:7], v[4:5], off offset:16
	v_lshlrev_b32_e32 v110, 5, v120
	v_accvgpr_write_b32 a237, v137
	v_accvgpr_write_b32 a236, v136
	;; [unrolled: 1-line block ×8, first 2 shown]
	s_waitcnt vmcnt(1)
	v_mul_f64 v[122:123], v[14:15], v[2:3]
	v_fma_f64 v[122:123], v[12:13], v[0:1], -v[122:123]
	v_mul_f64 v[158:159], v[12:13], v[2:3]
	s_waitcnt vmcnt(0)
	v_mul_f64 v[12:13], v[10:11], v[6:7]
	v_fma_f64 v[162:163], v[8:9], v[4:5], -v[12:13]
	v_mul_f64 v[164:165], v[8:9], v[6:7]
	v_lshl_add_u64 v[8:9], s[8:9], 0, v[110:111]
	v_lshl_add_u64 v[12:13], v[8:9], 0, s[14:15]
	v_add_co_u32_e64 v8, s[0:1], s16, v8
	v_accvgpr_write_b32 a241, v3
	v_accvgpr_write_b32 a245, v7
	v_addc_co_u32_e64 v9, s[0:1], 0, v9, s[0:1]
	v_accvgpr_write_b32 a240, v2
	v_accvgpr_write_b32 a239, v1
	v_accvgpr_write_b32 a238, v0
	v_fmac_f64_e32 v[158:159], v[14:15], v[0:1]
	v_accvgpr_write_b32 a244, v6
	v_accvgpr_write_b32 a243, v5
	;; [unrolled: 1-line block ×3, first 2 shown]
	v_fmac_f64_e32 v[164:165], v[10:11], v[4:5]
	global_load_dwordx4 v[0:3], v[8:9], off offset:2976
	global_load_dwordx4 v[4:7], v[12:13], off offset:16
	v_lshlrev_b32_e32 v110, 5, v118
	s_waitcnt vmcnt(1) lgkmcnt(13)
	v_mul_f64 v[120:121], v[22:23], v[2:3]
	v_fma_f64 v[166:167], v[20:21], v[0:1], -v[120:121]
	v_mul_f64 v[200:201], v[20:21], v[2:3]
	s_waitcnt vmcnt(0) lgkmcnt(12)
	v_mul_f64 v[20:21], v[18:19], v[6:7]
	v_fma_f64 v[202:203], v[16:17], v[4:5], -v[20:21]
	v_mul_f64 v[204:205], v[16:17], v[6:7]
	v_lshl_add_u64 v[16:17], s[8:9], 0, v[110:111]
	v_fmac_f64_e32 v[204:205], v[18:19], v[4:5]
	v_lshl_add_u64 v[18:19], v[16:17], 0, s[14:15]
	v_add_co_u32_e64 v16, s[0:1], s16, v16
	v_accvgpr_write_b32 a249, v3
	v_accvgpr_write_b32 a253, v7
	v_addc_co_u32_e64 v17, s[0:1], 0, v17, s[0:1]
	v_accvgpr_write_b32 a248, v2
	v_accvgpr_write_b32 a247, v1
	;; [unrolled: 1-line block ×3, first 2 shown]
	v_fmac_f64_e32 v[200:201], v[22:23], v[0:1]
	v_accvgpr_write_b32 a252, v6
	v_accvgpr_write_b32 a251, v5
	;; [unrolled: 1-line block ×3, first 2 shown]
	global_load_dwordx4 v[4:7], v[16:17], off offset:2976
	global_load_dwordx4 v[0:3], v[18:19], off offset:16
	v_lshlrev_b32_e32 v110, 5, v116
	s_waitcnt vmcnt(1) lgkmcnt(10)
	v_mul_f64 v[118:119], v[30:31], v[6:7]
	v_fma_f64 v[206:207], v[28:29], v[4:5], -v[118:119]
	v_mul_f64 v[208:209], v[28:29], v[6:7]
	s_waitcnt vmcnt(0) lgkmcnt(9)
	v_mul_f64 v[28:29], v[26:27], v[2:3]
	v_fma_f64 v[210:211], v[24:25], v[0:1], -v[28:29]
	v_mul_f64 v[212:213], v[24:25], v[2:3]
	v_lshl_add_u64 v[24:25], s[8:9], 0, v[110:111]
	v_fmac_f64_e32 v[212:213], v[26:27], v[0:1]
	v_lshl_add_u64 v[26:27], v[24:25], 0, s[14:15]
	v_add_co_u32_e64 v24, s[0:1], s16, v24
	v_accvgpr_write_b32 a73, v7
	v_accvgpr_write_b32 a177, v3
	v_addc_co_u32_e64 v25, s[0:1], 0, v25, s[0:1]
	v_accvgpr_write_b32 a72, v6
	v_accvgpr_write_b32 a71, v5
	;; [unrolled: 1-line block ×3, first 2 shown]
	v_fmac_f64_e32 v[208:209], v[30:31], v[4:5]
	v_accvgpr_write_b32 a176, v2
	v_accvgpr_write_b32 a175, v1
	;; [unrolled: 1-line block ×3, first 2 shown]
	global_load_dwordx4 v[4:7], v[24:25], off offset:2976
	global_load_dwordx4 v[0:3], v[26:27], off offset:16
	v_lshlrev_b32_e32 v110, 5, v114
	s_waitcnt vmcnt(1) lgkmcnt(7)
	v_mul_f64 v[116:117], v[38:39], v[6:7]
	v_fma_f64 v[214:215], v[36:37], v[4:5], -v[116:117]
	v_mul_f64 v[216:217], v[36:37], v[6:7]
	s_waitcnt vmcnt(0) lgkmcnt(6)
	v_mul_f64 v[36:37], v[34:35], v[2:3]
	v_fma_f64 v[218:219], v[32:33], v[0:1], -v[36:37]
	v_mul_f64 v[220:221], v[32:33], v[2:3]
	v_lshl_add_u64 v[32:33], s[8:9], 0, v[110:111]
	v_fmac_f64_e32 v[220:221], v[34:35], v[0:1]
	v_lshl_add_u64 v[34:35], v[32:33], 0, s[14:15]
	v_add_co_u32_e64 v32, s[0:1], s16, v32
	v_fmac_f64_e32 v[216:217], v[38:39], v[4:5]
	s_nop 0
	v_addc_co_u32_e64 v33, s[0:1], 0, v33, s[0:1]
	global_load_dwordx4 v[36:39], v[32:33], off offset:2976
	s_nop 0
	global_load_dwordx4 v[30:33], v[34:35], off offset:16
	v_lshlrev_b32_e32 v110, 5, v112
	v_accvgpr_write_b32 a57, v7
	v_accvgpr_write_b32 a56, v6
	;; [unrolled: 1-line block ×8, first 2 shown]
	s_waitcnt vmcnt(1) lgkmcnt(4)
	v_mul_f64 v[114:115], v[46:47], v[38:39]
	v_fma_f64 v[222:223], v[44:45], v[36:37], -v[114:115]
	v_mul_f64 v[224:225], v[44:45], v[38:39]
	s_waitcnt vmcnt(0) lgkmcnt(3)
	v_mul_f64 v[44:45], v[42:43], v[32:33]
	v_fma_f64 v[226:227], v[40:41], v[30:31], -v[44:45]
	v_mul_f64 v[228:229], v[40:41], v[32:33]
	v_lshl_add_u64 v[40:41], s[8:9], 0, v[110:111]
	v_fmac_f64_e32 v[228:229], v[42:43], v[30:31]
	v_lshl_add_u64 v[42:43], v[40:41], 0, s[14:15]
	v_add_co_u32_e64 v40, s[0:1], s16, v40
	v_fmac_f64_e32 v[224:225], v[46:47], v[36:37]
	s_nop 0
	v_addc_co_u32_e64 v41, s[0:1], 0, v41, s[0:1]
	global_load_dwordx4 v[44:47], v[40:41], off offset:2976
	s_nop 0
	global_load_dwordx4 v[40:43], v[42:43], off offset:16
	s_mov_b64 s[0:1], 0x5610
	s_waitcnt vmcnt(1) lgkmcnt(1)
	v_mul_f64 v[110:111], v[70:71], v[46:47]
	v_fma_f64 v[230:231], v[68:69], v[44:45], -v[110:111]
	v_mul_f64 v[232:233], v[68:69], v[46:47]
	s_waitcnt vmcnt(0) lgkmcnt(0)
	v_mul_f64 v[68:69], v[66:67], v[42:43]
	v_fma_f64 v[234:235], v[64:65], v[40:41], -v[68:69]
	v_mul_f64 v[236:237], v[64:65], v[42:43]
	v_add_f64 v[64:65], v[104:105], v[126:127]
	v_add_f64 v[152:153], v[64:65], v[86:87]
	v_add_f64 v[64:65], v[126:127], v[86:87]
	v_fmac_f64_e32 v[104:105], -0.5, v[64:65]
	v_add_f64 v[64:65], v[84:85], -v[80:81]
	v_fma_f64 v[144:145], s[10:11], v[64:65], v[104:105]
	v_fmac_f64_e32 v[104:105], s[12:13], v[64:65]
	v_add_f64 v[64:65], v[106:107], v[84:85]
	v_add_f64 v[154:155], v[64:65], v[80:81]
	v_add_f64 v[64:65], v[84:85], v[80:81]
	v_fmac_f64_e32 v[106:107], -0.5, v[64:65]
	v_add_f64 v[64:65], v[126:127], -v[86:87]
	v_fma_f64 v[146:147], s[12:13], v[64:65], v[106:107]
	v_fmac_f64_e32 v[106:107], s[10:11], v[64:65]
	;; [unrolled: 7-line block ×11, first 2 shown]
	v_add_f64 v[64:65], v[50:51], v[208:209]
	v_add_f64 v[114:115], v[64:65], v[212:213]
	;; [unrolled: 1-line block ×3, first 2 shown]
	v_fmac_f64_e32 v[236:237], v[66:67], v[40:41]
	v_fmac_f64_e32 v[50:51], -0.5, v[64:65]
	v_add_f64 v[64:65], v[206:207], -v[210:211]
	v_add_f64 v[66:67], v[214:215], v[218:219]
	v_fmac_f64_e32 v[232:233], v[70:71], v[44:45]
	v_fma_f64 v[110:111], s[12:13], v[64:65], v[50:51]
	v_fmac_f64_e32 v[50:51], s[10:11], v[64:65]
	v_add_f64 v[64:65], v[52:53], v[214:215]
	v_fmac_f64_e32 v[52:53], -0.5, v[66:67]
	v_add_f64 v[66:67], v[216:217], -v[220:221]
	v_add_f64 v[70:71], v[216:217], v[220:221]
	v_fma_f64 v[4:5], s[10:11], v[66:67], v[52:53]
	v_fmac_f64_e32 v[52:53], s[12:13], v[66:67]
	v_add_f64 v[66:67], v[54:55], v[216:217]
	v_fmac_f64_e32 v[54:55], -0.5, v[70:71]
	v_add_f64 v[72:73], v[214:215], -v[218:219]
	v_add_f64 v[74:75], v[222:223], v[226:227]
	;; [unrolled: 6-line block ×5, first 2 shown]
	v_fma_f64 v[20:21], s[10:11], v[82:83], v[60:61]
	v_fmac_f64_e32 v[60:61], s[12:13], v[82:83]
	v_add_f64 v[82:83], v[62:63], v[232:233]
	v_fmac_f64_e32 v[62:63], -0.5, v[86:87]
	v_add_f64 v[158:159], v[230:231], -v[234:235]
	v_fma_f64 v[22:23], s[12:13], v[158:159], v[62:63]
	v_fmac_f64_e32 v[62:63], s[10:11], v[158:159]
	s_movk_i32 s10, 0x5000
	v_add_f64 v[0:1], v[64:65], v[218:219]
	v_add_f64 v[2:3], v[66:67], v[220:221]
	;; [unrolled: 1-line block ×6, first 2 shown]
	ds_write_b128 v160, v[152:155]
	ds_write_b128 v160, v[144:147] offset:7344
	ds_write_b128 v160, v[104:107] offset:14688
	;; [unrolled: 1-line block ×26, first 2 shown]
	v_lshl_add_u64 v[92:93], v[156:157], 0, s[0:1]
	v_add_co_u32_e64 v94, s[0:1], s10, v156
	s_waitcnt lgkmcnt(0)
	s_nop 0
	v_addc_co_u32_e64 v95, s[0:1], 0, v157, s[0:1]
	; wave barrier
	global_load_dwordx4 v[94:97], v[94:95], off offset:1552
	ds_read_b128 v[88:91], v160
	s_movk_i32 s0, 0x6000
	v_add_co_u32_e64 v102, s[0:1], s0, v156
	s_waitcnt vmcnt(0) lgkmcnt(0)
	v_mul_f64 v[98:99], v[90:91], v[96:97]
	v_mul_f64 v[100:101], v[88:89], v[96:97]
	v_fma_f64 v[98:99], v[88:89], v[94:95], -v[98:99]
	v_fmac_f64_e32 v[100:101], v[90:91], v[94:95]
	global_load_dwordx4 v[94:97], v[92:93], off offset:1296
	ds_read_b128 v[88:91], v160 offset:1296
	ds_write_b128 v160, v[98:101]
	v_addc_co_u32_e64 v103, s[0:1], 0, v157, s[0:1]
	s_movk_i32 s0, 0x7000
	s_waitcnt vmcnt(0) lgkmcnt(1)
	v_mul_f64 v[98:99], v[90:91], v[96:97]
	v_mul_f64 v[100:101], v[88:89], v[96:97]
	v_fma_f64 v[98:99], v[88:89], v[94:95], -v[98:99]
	v_fmac_f64_e32 v[100:101], v[90:91], v[94:95]
	global_load_dwordx4 v[94:97], v[92:93], off offset:2592
	ds_read_b128 v[88:91], v160 offset:2592
	ds_write_b128 v160, v[98:101] offset:1296
	s_waitcnt vmcnt(0) lgkmcnt(1)
	v_mul_f64 v[98:99], v[90:91], v[96:97]
	v_mul_f64 v[100:101], v[88:89], v[96:97]
	v_fma_f64 v[98:99], v[88:89], v[94:95], -v[98:99]
	v_fmac_f64_e32 v[100:101], v[90:91], v[94:95]
	global_load_dwordx4 v[94:97], v[92:93], off offset:3888
	ds_read_b128 v[88:91], v160 offset:3888
	ds_write_b128 v160, v[98:101] offset:2592
	;; [unrolled: 8-line block ×3, first 2 shown]
	s_waitcnt vmcnt(0) lgkmcnt(1)
	v_mul_f64 v[98:99], v[90:91], v[96:97]
	v_mul_f64 v[100:101], v[88:89], v[96:97]
	v_fma_f64 v[98:99], v[88:89], v[94:95], -v[98:99]
	v_fmac_f64_e32 v[100:101], v[90:91], v[94:95]
	global_load_dwordx4 v[94:97], v[102:103], off offset:3936
	ds_read_b128 v[88:91], v160 offset:6480
	v_add_co_u32_e64 v102, s[0:1], s0, v156
	ds_write_b128 v160, v[98:101] offset:5184
	s_nop 0
	v_addc_co_u32_e64 v103, s[0:1], 0, v157, s[0:1]
	s_mov_b32 s0, 0x8000
	s_waitcnt vmcnt(0) lgkmcnt(1)
	v_mul_f64 v[98:99], v[90:91], v[96:97]
	v_mul_f64 v[100:101], v[88:89], v[96:97]
	v_fma_f64 v[98:99], v[88:89], v[94:95], -v[98:99]
	v_fmac_f64_e32 v[100:101], v[90:91], v[94:95]
	global_load_dwordx4 v[94:97], v[102:103], off offset:1136
	ds_read_b128 v[88:91], v160 offset:7776
	ds_write_b128 v160, v[98:101] offset:6480
	s_waitcnt vmcnt(0) lgkmcnt(1)
	v_mul_f64 v[98:99], v[90:91], v[96:97]
	v_mul_f64 v[100:101], v[88:89], v[96:97]
	v_fma_f64 v[98:99], v[88:89], v[94:95], -v[98:99]
	v_fmac_f64_e32 v[100:101], v[90:91], v[94:95]
	global_load_dwordx4 v[94:97], v[102:103], off offset:2432
	ds_read_b128 v[88:91], v160 offset:9072
	ds_write_b128 v160, v[98:101] offset:7776
	s_waitcnt vmcnt(0) lgkmcnt(1)
	v_mul_f64 v[98:99], v[90:91], v[96:97]
	v_mul_f64 v[100:101], v[88:89], v[96:97]
	v_fma_f64 v[98:99], v[88:89], v[94:95], -v[98:99]
	v_fmac_f64_e32 v[100:101], v[90:91], v[94:95]
	global_load_dwordx4 v[94:97], v[102:103], off offset:3728
	ds_read_b128 v[88:91], v160 offset:10368
	v_add_co_u32_e64 v102, s[0:1], s0, v156
	ds_write_b128 v160, v[98:101] offset:9072
	s_nop 0
	v_addc_co_u32_e64 v103, s[0:1], 0, v157, s[0:1]
	s_mov_b32 s0, 0x9000
	s_waitcnt vmcnt(0) lgkmcnt(1)
	v_mul_f64 v[98:99], v[90:91], v[96:97]
	v_mul_f64 v[100:101], v[88:89], v[96:97]
	v_fma_f64 v[98:99], v[88:89], v[94:95], -v[98:99]
	v_fmac_f64_e32 v[100:101], v[90:91], v[94:95]
	global_load_dwordx4 v[94:97], v[102:103], off offset:928
	ds_read_b128 v[88:91], v160 offset:11664
	ds_write_b128 v160, v[98:101] offset:10368
	s_waitcnt vmcnt(0) lgkmcnt(1)
	v_mul_f64 v[98:99], v[90:91], v[96:97]
	v_mul_f64 v[100:101], v[88:89], v[96:97]
	v_fma_f64 v[98:99], v[88:89], v[94:95], -v[98:99]
	v_fmac_f64_e32 v[100:101], v[90:91], v[94:95]
	global_load_dwordx4 v[94:97], v[102:103], off offset:2224
	ds_read_b128 v[88:91], v160 offset:12960
	ds_write_b128 v160, v[98:101] offset:11664
	;; [unrolled: 28-line block ×3, first 2 shown]
	s_waitcnt vmcnt(0) lgkmcnt(1)
	v_mul_f64 v[98:99], v[90:91], v[96:97]
	v_mul_f64 v[100:101], v[88:89], v[96:97]
	v_fma_f64 v[98:99], v[88:89], v[94:95], -v[98:99]
	v_fmac_f64_e32 v[100:101], v[90:91], v[94:95]
	global_load_dwordx4 v[94:97], v[102:103], off offset:3312
	ds_read_b128 v[88:91], v160 offset:18144
	v_add_co_u32_e64 v102, s[0:1], s0, v156
	ds_write_b128 v160, v[98:101] offset:16848
	s_nop 0
	v_addc_co_u32_e64 v103, s[0:1], 0, v157, s[0:1]
	s_waitcnt vmcnt(0) lgkmcnt(1)
	v_mul_f64 v[98:99], v[90:91], v[96:97]
	v_mul_f64 v[100:101], v[88:89], v[96:97]
	v_fma_f64 v[98:99], v[88:89], v[94:95], -v[98:99]
	v_fmac_f64_e32 v[100:101], v[90:91], v[94:95]
	global_load_dwordx4 v[94:97], v[102:103], off offset:512
	ds_read_b128 v[88:91], v160 offset:19440
	ds_write_b128 v160, v[98:101] offset:18144
	s_waitcnt vmcnt(0) lgkmcnt(1)
	v_mul_f64 v[98:99], v[90:91], v[96:97]
	v_mul_f64 v[100:101], v[88:89], v[96:97]
	v_fma_f64 v[98:99], v[88:89], v[94:95], -v[98:99]
	v_fmac_f64_e32 v[100:101], v[90:91], v[94:95]
	global_load_dwordx4 v[94:97], v[102:103], off offset:1808
	ds_read_b128 v[88:91], v160 offset:20736
	ds_write_b128 v160, v[98:101] offset:19440
	s_waitcnt vmcnt(0) lgkmcnt(1)
	v_mul_f64 v[98:99], v[90:91], v[96:97]
	v_mul_f64 v[100:101], v[88:89], v[96:97]
	v_fma_f64 v[98:99], v[88:89], v[94:95], -v[98:99]
	v_fmac_f64_e32 v[100:101], v[90:91], v[94:95]
	ds_write_b128 v160, v[98:101] offset:20736
	s_and_saveexec_b64 s[8:9], vcc
	s_cbranch_execz .LBB0_9
; %bb.8:
	global_load_dwordx4 v[94:97], v[92:93], off offset:816
	ds_read_b128 v[88:91], v160 offset:816
	v_add_co_u32_e64 v102, s[0:1], s16, v92
	s_waitcnt vmcnt(0) lgkmcnt(0)
	v_mul_f64 v[98:99], v[90:91], v[96:97]
	v_mul_f64 v[100:101], v[88:89], v[96:97]
	v_fma_f64 v[98:99], v[88:89], v[94:95], -v[98:99]
	v_fmac_f64_e32 v[100:101], v[90:91], v[94:95]
	global_load_dwordx4 v[94:97], v[92:93], off offset:2112
	ds_read_b128 v[88:91], v160 offset:2112
	ds_write_b128 v160, v[98:101] offset:816
	v_addc_co_u32_e64 v103, s[0:1], 0, v93, s[0:1]
	s_movk_i32 s0, 0x2000
	s_waitcnt vmcnt(0) lgkmcnt(1)
	v_mul_f64 v[98:99], v[90:91], v[96:97]
	v_mul_f64 v[100:101], v[88:89], v[96:97]
	v_fma_f64 v[98:99], v[88:89], v[94:95], -v[98:99]
	v_fmac_f64_e32 v[100:101], v[90:91], v[94:95]
	global_load_dwordx4 v[94:97], v[92:93], off offset:3408
	ds_read_b128 v[88:91], v160 offset:3408
	ds_write_b128 v160, v[98:101] offset:2112
	s_waitcnt vmcnt(0) lgkmcnt(1)
	v_mul_f64 v[98:99], v[90:91], v[96:97]
	v_mul_f64 v[100:101], v[88:89], v[96:97]
	v_fma_f64 v[98:99], v[88:89], v[94:95], -v[98:99]
	v_fmac_f64_e32 v[100:101], v[90:91], v[94:95]
	global_load_dwordx4 v[94:97], v[102:103], off offset:608
	ds_read_b128 v[88:91], v160 offset:4704
	ds_write_b128 v160, v[98:101] offset:3408
	;; [unrolled: 8-line block ×3, first 2 shown]
	s_waitcnt vmcnt(0) lgkmcnt(1)
	v_mul_f64 v[98:99], v[90:91], v[96:97]
	v_mul_f64 v[100:101], v[88:89], v[96:97]
	v_fma_f64 v[98:99], v[88:89], v[94:95], -v[98:99]
	v_fmac_f64_e32 v[100:101], v[90:91], v[94:95]
	global_load_dwordx4 v[94:97], v[102:103], off offset:3200
	ds_read_b128 v[88:91], v160 offset:7296
	v_add_co_u32_e64 v102, s[0:1], s0, v92
	ds_write_b128 v160, v[98:101] offset:6000
	s_nop 0
	v_addc_co_u32_e64 v103, s[0:1], 0, v93, s[0:1]
	s_movk_i32 s0, 0x3000
	s_waitcnt vmcnt(0) lgkmcnt(1)
	v_mul_f64 v[98:99], v[90:91], v[96:97]
	v_mul_f64 v[100:101], v[88:89], v[96:97]
	v_fma_f64 v[98:99], v[88:89], v[94:95], -v[98:99]
	v_fmac_f64_e32 v[100:101], v[90:91], v[94:95]
	global_load_dwordx4 v[94:97], v[102:103], off offset:400
	ds_read_b128 v[88:91], v160 offset:8592
	ds_write_b128 v160, v[98:101] offset:7296
	s_waitcnt vmcnt(0) lgkmcnt(1)
	v_mul_f64 v[98:99], v[90:91], v[96:97]
	v_mul_f64 v[100:101], v[88:89], v[96:97]
	v_fma_f64 v[98:99], v[88:89], v[94:95], -v[98:99]
	v_fmac_f64_e32 v[100:101], v[90:91], v[94:95]
	global_load_dwordx4 v[94:97], v[102:103], off offset:1696
	ds_read_b128 v[88:91], v160 offset:9888
	ds_write_b128 v160, v[98:101] offset:8592
	s_waitcnt vmcnt(0) lgkmcnt(1)
	v_mul_f64 v[98:99], v[90:91], v[96:97]
	v_mul_f64 v[100:101], v[88:89], v[96:97]
	v_fma_f64 v[98:99], v[88:89], v[94:95], -v[98:99]
	v_fmac_f64_e32 v[100:101], v[90:91], v[94:95]
	global_load_dwordx4 v[94:97], v[102:103], off offset:2992
	ds_read_b128 v[88:91], v160 offset:11184
	v_add_co_u32_e64 v102, s[0:1], s0, v92
	ds_write_b128 v160, v[98:101] offset:9888
	s_nop 0
	v_addc_co_u32_e64 v103, s[0:1], 0, v93, s[0:1]
	s_movk_i32 s0, 0x4000
	s_waitcnt vmcnt(0) lgkmcnt(1)
	v_mul_f64 v[98:99], v[90:91], v[96:97]
	v_mul_f64 v[100:101], v[88:89], v[96:97]
	v_fma_f64 v[98:99], v[88:89], v[94:95], -v[98:99]
	v_fmac_f64_e32 v[100:101], v[90:91], v[94:95]
	global_load_dwordx4 v[94:97], v[102:103], off offset:192
	ds_read_b128 v[88:91], v160 offset:12480
	ds_write_b128 v160, v[98:101] offset:11184
	s_waitcnt vmcnt(0) lgkmcnt(1)
	v_mul_f64 v[98:99], v[90:91], v[96:97]
	v_mul_f64 v[100:101], v[88:89], v[96:97]
	v_fma_f64 v[98:99], v[88:89], v[94:95], -v[98:99]
	v_fmac_f64_e32 v[100:101], v[90:91], v[94:95]
	global_load_dwordx4 v[94:97], v[102:103], off offset:1488
	ds_read_b128 v[88:91], v160 offset:13776
	ds_write_b128 v160, v[98:101] offset:12480
	;; [unrolled: 8-line block ×3, first 2 shown]
	s_waitcnt vmcnt(0) lgkmcnt(1)
	v_mul_f64 v[98:99], v[90:91], v[96:97]
	v_mul_f64 v[100:101], v[88:89], v[96:97]
	v_fma_f64 v[98:99], v[88:89], v[94:95], -v[98:99]
	v_fmac_f64_e32 v[100:101], v[90:91], v[94:95]
	global_load_dwordx4 v[94:97], v[102:103], off offset:4080
	ds_read_b128 v[88:91], v160 offset:16368
	v_add_co_u32_e64 v102, s[0:1], s0, v92
	ds_write_b128 v160, v[98:101] offset:15072
	s_nop 0
	v_addc_co_u32_e64 v103, s[0:1], 0, v93, s[0:1]
	v_add_co_u32_e64 v92, s[0:1], s10, v92
	s_waitcnt vmcnt(0) lgkmcnt(1)
	v_mul_f64 v[98:99], v[90:91], v[96:97]
	v_mul_f64 v[100:101], v[88:89], v[96:97]
	v_fma_f64 v[98:99], v[88:89], v[94:95], -v[98:99]
	v_fmac_f64_e32 v[100:101], v[90:91], v[94:95]
	global_load_dwordx4 v[94:97], v[102:103], off offset:1280
	ds_read_b128 v[88:91], v160 offset:17664
	ds_write_b128 v160, v[98:101] offset:16368
	v_addc_co_u32_e64 v93, s[0:1], 0, v93, s[0:1]
	s_waitcnt vmcnt(0) lgkmcnt(1)
	v_mul_f64 v[98:99], v[90:91], v[96:97]
	v_mul_f64 v[100:101], v[88:89], v[96:97]
	v_fma_f64 v[98:99], v[88:89], v[94:95], -v[98:99]
	v_fmac_f64_e32 v[100:101], v[90:91], v[94:95]
	global_load_dwordx4 v[94:97], v[102:103], off offset:2576
	ds_read_b128 v[88:91], v160 offset:18960
	ds_write_b128 v160, v[98:101] offset:17664
	s_waitcnt vmcnt(0) lgkmcnt(1)
	v_mul_f64 v[98:99], v[90:91], v[96:97]
	v_mul_f64 v[100:101], v[88:89], v[96:97]
	v_fma_f64 v[98:99], v[88:89], v[94:95], -v[98:99]
	v_fmac_f64_e32 v[100:101], v[90:91], v[94:95]
	global_load_dwordx4 v[94:97], v[102:103], off offset:3872
	ds_read_b128 v[88:91], v160 offset:20256
	ds_write_b128 v160, v[98:101] offset:18960
	;; [unrolled: 8-line block ×3, first 2 shown]
	s_waitcnt vmcnt(0) lgkmcnt(1)
	v_mul_f64 v[96:97], v[90:91], v[94:95]
	v_mul_f64 v[98:99], v[88:89], v[94:95]
	v_fma_f64 v[96:97], v[88:89], v[92:93], -v[96:97]
	v_fmac_f64_e32 v[98:99], v[90:91], v[92:93]
	ds_write_b128 v160, v[96:99] offset:21552
.LBB0_9:
	s_or_b64 exec, exec, s[8:9]
	s_waitcnt lgkmcnt(0)
	; wave barrier
	s_waitcnt lgkmcnt(0)
	ds_read_b128 v[144:147], v160
	ds_read_b128 v[152:155], v160 offset:1296
	ds_read_b128 v[140:143], v160 offset:2592
	;; [unrolled: 1-line block ×16, first 2 shown]
	s_and_saveexec_b64 s[0:1], vcc
	s_cbranch_execz .LBB0_11
; %bb.10:
	ds_read_b128 v[48:51], v160 offset:816
	ds_read_b128 v[0:3], v160 offset:2112
	;; [unrolled: 1-line block ×17, first 2 shown]
.LBB0_11:
	s_or_b64 exec, exec, s[0:1]
	s_waitcnt lgkmcnt(14)
	v_add_f64 v[120:121], v[144:145], v[152:153]
	v_add_f64 v[122:123], v[146:147], v[154:155]
	;; [unrolled: 1-line block ×4, first 2 shown]
	s_waitcnt lgkmcnt(13)
	v_add_f64 v[120:121], v[120:121], v[132:133]
	v_add_f64 v[122:123], v[122:123], v[134:135]
	s_waitcnt lgkmcnt(12)
	v_add_f64 v[120:121], v[120:121], v[124:125]
	v_add_f64 v[122:123], v[122:123], v[126:127]
	;; [unrolled: 3-line block ×11, first 2 shown]
	s_waitcnt lgkmcnt(2)
	v_add_f64 v[120:121], v[120:121], v[136:137]
	s_mov_b32 s10, 0x5d8e7cdc
	s_mov_b32 s14, 0x2a9d6da3
	;; [unrolled: 1-line block ×7, first 2 shown]
	v_add_f64 v[122:123], v[122:123], v[138:139]
	s_waitcnt lgkmcnt(1)
	v_add_f64 v[120:121], v[120:121], v[148:149]
	s_waitcnt lgkmcnt(0)
	v_add_f64 v[164:165], v[154:155], v[158:159]
	v_add_f64 v[154:155], v[154:155], -v[158:159]
	s_mov_b32 s11, 0xbfd71e95
	s_mov_b32 s0, 0x370991
	;; [unrolled: 1-line block ×15, first 2 shown]
	v_add_f64 v[122:123], v[122:123], v[150:151]
	v_add_f64 v[120:121], v[120:121], v[156:157]
	v_add_f64 v[162:163], v[152:153], v[156:157]
	v_add_f64 v[152:153], v[152:153], -v[156:157]
	v_mul_f64 v[156:157], v[154:155], s[10:11]
	s_mov_b32 s1, 0x3fedd6d0
	v_mul_f64 v[202:203], v[154:155], s[14:15]
	s_mov_b32 s9, 0x3fe7a5f6
	;; [unrolled: 2-line block ×8, first 2 shown]
	v_add_f64 v[122:123], v[122:123], v[158:159]
	v_fma_f64 v[158:159], s[0:1], v[162:163], v[156:157]
	v_fma_f64 v[156:157], v[162:163], s[0:1], -v[156:157]
	v_fma_f64 v[204:205], s[8:9], v[162:163], v[202:203]
	v_fma_f64 v[202:203], v[162:163], s[8:9], -v[202:203]
	;; [unrolled: 2-line block ×8, first 2 shown]
	v_add_f64 v[158:159], v[144:145], v[158:159]
	v_mul_f64 v[166:167], v[164:165], s[0:1]
	s_mov_b32 s31, 0x3fd71e95
	s_mov_b32 s30, s10
	v_add_f64 v[156:157], v[144:145], v[156:157]
	v_add_f64 v[204:205], v[144:145], v[204:205]
	v_mul_f64 v[206:207], v[164:165], s[8:9]
	s_mov_b32 s47, 0x3fe58eea
	s_mov_b32 s46, s14
	v_add_f64 v[202:203], v[144:145], v[202:203]
	;; [unrolled: 5-line block ×6, first 2 shown]
	v_add_f64 v[246:247], v[144:145], v[246:247]
	v_mul_f64 v[248:249], v[164:165], s[28:29]
	s_mov_b32 s48, s38
	v_add_f64 v[244:245], v[144:145], v[244:245]
	v_add_f64 v[252:253], v[144:145], v[252:253]
	v_mul_f64 v[164:165], v[164:165], s[36:37]
	s_mov_b32 s51, 0x3fc7851a
	s_mov_b32 s50, s42
	v_add_f64 v[144:145], v[144:145], v[154:155]
	v_add_f64 v[154:155], v[142:143], v[150:151]
	v_add_f64 v[142:143], v[142:143], -v[150:151]
	v_fma_f64 v[200:201], s[30:31], v[152:153], v[166:167]
	v_fmac_f64_e32 v[166:167], s[10:11], v[152:153]
	v_fma_f64 v[208:209], s[46:47], v[152:153], v[206:207]
	v_fmac_f64_e32 v[206:207], s[14:15], v[152:153]
	;; [unrolled: 2-line block ×8, first 2 shown]
	v_add_f64 v[152:153], v[140:141], v[148:149]
	v_add_f64 v[140:141], v[140:141], -v[148:149]
	v_mul_f64 v[148:149], v[142:143], s[14:15]
	v_fma_f64 v[150:151], s[8:9], v[152:153], v[148:149]
	v_add_f64 v[150:151], v[150:151], v[158:159]
	v_mul_f64 v[158:159], v[154:155], s[8:9]
	v_add_f64 v[166:167], v[146:147], v[166:167]
	v_fma_f64 v[162:163], s[46:47], v[140:141], v[158:159]
	v_fma_f64 v[148:149], v[152:153], s[8:9], -v[148:149]
	v_fmac_f64_e32 v[158:159], s[14:15], v[140:141]
	v_add_f64 v[148:149], v[148:149], v[156:157]
	v_add_f64 v[156:157], v[158:159], v[166:167]
	v_mul_f64 v[158:159], v[142:143], s[22:23]
	v_add_f64 v[200:201], v[146:147], v[200:201]
	v_add_f64 v[208:209], v[146:147], v[208:209]
	;; [unrolled: 1-line block ×15, first 2 shown]
	v_fma_f64 v[164:165], s[16:17], v[152:153], v[158:159]
	v_mul_f64 v[166:167], v[154:155], s[16:17]
	v_fma_f64 v[158:159], v[152:153], s[16:17], -v[158:159]
	v_add_f64 v[162:163], v[162:163], v[200:201]
	v_fma_f64 v[200:201], s[54:55], v[140:141], v[166:167]
	v_add_f64 v[158:159], v[158:159], v[202:203]
	v_fmac_f64_e32 v[166:167], s[22:23], v[140:141]
	v_mul_f64 v[202:203], v[142:143], s[34:35]
	v_add_f64 v[164:165], v[164:165], v[204:205]
	v_add_f64 v[166:167], v[166:167], v[206:207]
	v_fma_f64 v[204:205], s[24:25], v[152:153], v[202:203]
	v_mul_f64 v[206:207], v[154:155], s[24:25]
	v_fma_f64 v[202:203], v[152:153], s[24:25], -v[202:203]
	v_add_f64 v[200:201], v[200:201], v[208:209]
	v_fma_f64 v[208:209], s[52:53], v[140:141], v[206:207]
	v_add_f64 v[202:203], v[202:203], v[210:211]
	v_fmac_f64_e32 v[206:207], s[34:35], v[140:141]
	v_mul_f64 v[210:211], v[142:143], s[42:43]
	v_add_f64 v[204:205], v[204:205], v[212:213]
	v_add_f64 v[206:207], v[206:207], v[214:215]
	;; [unrolled: 10-line block ×5, first 2 shown]
	v_fma_f64 v[236:237], s[12:13], v[152:153], v[234:235]
	v_mul_f64 v[240:241], v[154:155], s[12:13]
	v_mul_f64 v[154:155], v[154:155], s[0:1]
	v_add_f64 v[236:237], v[236:237], v[246:247]
	v_fma_f64 v[234:235], v[152:153], s[12:13], -v[234:235]
	v_mul_f64 v[142:143], v[142:143], s[30:31]
	v_fma_f64 v[246:247], s[10:11], v[140:141], v[154:155]
	v_fmac_f64_e32 v[154:155], s[30:31], v[140:141]
	v_add_f64 v[232:233], v[232:233], v[242:243]
	v_fma_f64 v[242:243], s[18:19], v[140:141], v[240:241]
	v_add_f64 v[234:235], v[234:235], v[244:245]
	v_fmac_f64_e32 v[240:241], s[40:41], v[140:141]
	v_fma_f64 v[244:245], s[0:1], v[152:153], v[142:143]
	v_fma_f64 v[142:143], v[152:153], s[0:1], -v[142:143]
	v_add_f64 v[140:141], v[154:155], v[146:147]
	v_add_f64 v[146:147], v[134:135], v[138:139]
	v_add_f64 v[134:135], v[134:135], -v[138:139]
	v_add_f64 v[142:143], v[142:143], v[144:145]
	v_add_f64 v[144:145], v[132:133], v[136:137]
	v_add_f64 v[132:133], v[132:133], -v[136:137]
	v_mul_f64 v[136:137], v[134:135], s[18:19]
	v_fma_f64 v[138:139], s[12:13], v[144:145], v[136:137]
	v_add_f64 v[138:139], v[138:139], v[150:151]
	v_mul_f64 v[150:151], v[146:147], s[12:13]
	v_fma_f64 v[152:153], s[40:41], v[132:133], v[150:151]
	v_fma_f64 v[136:137], v[144:145], s[12:13], -v[136:137]
	v_fmac_f64_e32 v[150:151], s[18:19], v[132:133]
	v_add_f64 v[136:137], v[136:137], v[148:149]
	v_add_f64 v[148:149], v[150:151], v[156:157]
	v_mul_f64 v[150:151], v[134:135], s[34:35]
	v_fma_f64 v[154:155], s[24:25], v[144:145], v[150:151]
	v_fma_f64 v[150:151], v[144:145], s[24:25], -v[150:151]
	v_mul_f64 v[156:157], v[146:147], s[24:25]
	v_add_f64 v[150:151], v[150:151], v[158:159]
	v_mul_f64 v[158:159], v[134:135], s[50:51]
	v_add_f64 v[152:153], v[152:153], v[162:163]
	v_add_f64 v[154:155], v[154:155], v[164:165]
	v_fma_f64 v[162:163], s[52:53], v[132:133], v[156:157]
	v_fmac_f64_e32 v[156:157], s[34:35], v[132:133]
	v_fma_f64 v[164:165], s[36:37], v[144:145], v[158:159]
	v_fma_f64 v[158:159], v[144:145], s[36:37], -v[158:159]
	v_add_f64 v[156:157], v[156:157], v[166:167]
	v_mul_f64 v[166:167], v[146:147], s[36:37]
	v_add_f64 v[158:159], v[158:159], v[202:203]
	v_mul_f64 v[202:203], v[134:135], s[44:45]
	v_add_f64 v[162:163], v[162:163], v[200:201]
	v_add_f64 v[164:165], v[164:165], v[204:205]
	v_fma_f64 v[200:201], s[42:43], v[132:133], v[166:167]
	v_fmac_f64_e32 v[166:167], s[50:51], v[132:133]
	v_fma_f64 v[204:205], s[20:21], v[144:145], v[202:203]
	v_fma_f64 v[202:203], v[144:145], s[20:21], -v[202:203]
	v_add_f64 v[166:167], v[166:167], v[206:207]
	;; [unrolled: 10-line block ×4, first 2 shown]
	v_mul_f64 v[222:223], v[146:147], s[0:1]
	v_add_f64 v[218:219], v[218:219], v[226:227]
	v_mul_f64 v[226:227], v[134:135], s[22:23]
	v_add_f64 v[216:217], v[216:217], v[224:225]
	v_add_f64 v[220:221], v[220:221], v[228:229]
	v_fma_f64 v[224:225], s[30:31], v[132:133], v[222:223]
	v_fmac_f64_e32 v[222:223], s[10:11], v[132:133]
	v_fma_f64 v[228:229], s[16:17], v[144:145], v[226:227]
	v_fma_f64 v[226:227], v[144:145], s[16:17], -v[226:227]
	v_mul_f64 v[134:135], v[134:135], s[38:39]
	v_add_f64 v[222:223], v[222:223], v[230:231]
	v_mul_f64 v[230:231], v[146:147], s[16:17]
	v_add_f64 v[226:227], v[226:227], v[234:235]
	v_fma_f64 v[234:235], s[28:29], v[144:145], v[134:135]
	v_mul_f64 v[146:147], v[146:147], s[28:29]
	v_fma_f64 v[134:135], v[144:145], s[28:29], -v[134:135]
	v_add_f64 v[228:229], v[228:229], v[236:237]
	v_fma_f64 v[236:237], s[48:49], v[132:133], v[146:147]
	v_add_f64 v[134:135], v[134:135], v[142:143]
	v_fmac_f64_e32 v[146:147], s[38:39], v[132:133]
	v_add_f64 v[142:143], v[126:127], v[130:131]
	v_add_f64 v[126:127], v[126:127], -v[130:131]
	v_add_f64 v[224:225], v[224:225], v[232:233]
	v_fma_f64 v[232:233], s[54:55], v[132:133], v[230:231]
	v_fmac_f64_e32 v[230:231], s[22:23], v[132:133]
	v_add_f64 v[132:133], v[146:147], v[140:141]
	v_add_f64 v[140:141], v[124:125], v[128:129]
	v_add_f64 v[124:125], v[124:125], -v[128:129]
	v_mul_f64 v[128:129], v[126:127], s[22:23]
	v_fma_f64 v[130:131], s[16:17], v[140:141], v[128:129]
	v_add_f64 v[130:131], v[130:131], v[138:139]
	v_mul_f64 v[138:139], v[142:143], s[16:17]
	v_fma_f64 v[144:145], s[54:55], v[124:125], v[138:139]
	v_fma_f64 v[128:129], v[140:141], s[16:17], -v[128:129]
	v_fmac_f64_e32 v[138:139], s[22:23], v[124:125]
	v_add_f64 v[128:129], v[128:129], v[136:137]
	v_add_f64 v[136:137], v[138:139], v[148:149]
	v_mul_f64 v[138:139], v[126:127], s[42:43]
	v_fma_f64 v[146:147], s[36:37], v[140:141], v[138:139]
	v_fma_f64 v[138:139], v[140:141], s[36:37], -v[138:139]
	v_mul_f64 v[148:149], v[142:143], s[36:37]
	v_add_f64 v[138:139], v[138:139], v[150:151]
	v_mul_f64 v[150:151], v[126:127], s[44:45]
	v_add_f64 v[144:145], v[144:145], v[152:153]
	v_add_f64 v[146:147], v[146:147], v[154:155]
	v_fma_f64 v[152:153], s[50:51], v[124:125], v[148:149]
	v_fmac_f64_e32 v[148:149], s[42:43], v[124:125]
	v_fma_f64 v[154:155], s[20:21], v[140:141], v[150:151]
	v_fma_f64 v[150:151], v[140:141], s[20:21], -v[150:151]
	v_add_f64 v[148:149], v[148:149], v[156:157]
	v_mul_f64 v[156:157], v[142:143], s[20:21]
	v_add_f64 v[150:151], v[150:151], v[158:159]
	v_mul_f64 v[158:159], v[126:127], s[30:31]
	v_add_f64 v[152:153], v[152:153], v[162:163]
	v_add_f64 v[154:155], v[154:155], v[164:165]
	v_fma_f64 v[162:163], s[26:27], v[124:125], v[156:157]
	v_fmac_f64_e32 v[156:157], s[44:45], v[124:125]
	v_fma_f64 v[164:165], s[0:1], v[140:141], v[158:159]
	v_fma_f64 v[158:159], v[140:141], s[0:1], -v[158:159]
	v_add_f64 v[156:157], v[156:157], v[166:167]
	;; [unrolled: 10-line block ×4, first 2 shown]
	v_mul_f64 v[214:215], v[142:143], s[28:29]
	v_add_f64 v[210:211], v[210:211], v[218:219]
	v_mul_f64 v[218:219], v[126:127], s[52:53]
	v_add_f64 v[208:209], v[208:209], v[216:217]
	v_add_f64 v[212:213], v[212:213], v[220:221]
	v_fma_f64 v[216:217], s[48:49], v[124:125], v[214:215]
	v_fmac_f64_e32 v[214:215], s[38:39], v[124:125]
	v_fma_f64 v[220:221], s[24:25], v[140:141], v[218:219]
	v_fma_f64 v[218:219], v[140:141], s[24:25], -v[218:219]
	v_mul_f64 v[126:127], v[126:127], s[46:47]
	v_add_f64 v[214:215], v[214:215], v[222:223]
	v_mul_f64 v[222:223], v[142:143], s[24:25]
	v_add_f64 v[218:219], v[218:219], v[226:227]
	v_fma_f64 v[226:227], s[8:9], v[140:141], v[126:127]
	v_mul_f64 v[142:143], v[142:143], s[8:9]
	v_fma_f64 v[126:127], v[140:141], s[8:9], -v[126:127]
	v_add_f64 v[220:221], v[220:221], v[228:229]
	v_fma_f64 v[228:229], s[14:15], v[124:125], v[142:143]
	v_add_f64 v[126:127], v[126:127], v[134:135]
	v_fmac_f64_e32 v[142:143], s[46:47], v[124:125]
	v_add_f64 v[134:135], v[114:115], v[118:119]
	v_add_f64 v[114:115], v[114:115], -v[118:119]
	v_add_f64 v[216:217], v[216:217], v[224:225]
	v_fma_f64 v[224:225], s[34:35], v[124:125], v[222:223]
	v_fmac_f64_e32 v[222:223], s[52:53], v[124:125]
	v_add_f64 v[124:125], v[142:143], v[132:133]
	v_add_f64 v[132:133], v[112:113], v[116:117]
	v_add_f64 v[112:113], v[112:113], -v[116:117]
	v_mul_f64 v[116:117], v[114:115], s[26:27]
	v_fma_f64 v[118:119], s[20:21], v[132:133], v[116:117]
	v_add_f64 v[118:119], v[118:119], v[130:131]
	v_mul_f64 v[130:131], v[134:135], s[20:21]
	v_fma_f64 v[140:141], s[44:45], v[112:113], v[130:131]
	v_fma_f64 v[116:117], v[132:133], s[20:21], -v[116:117]
	v_fmac_f64_e32 v[130:131], s[26:27], v[112:113]
	v_add_f64 v[116:117], v[116:117], v[128:129]
	v_add_f64 v[128:129], v[130:131], v[136:137]
	v_mul_f64 v[130:131], v[114:115], s[48:49]
	v_mul_f64 v[142:143], v[134:135], s[28:29]
	v_add_f64 v[140:141], v[140:141], v[144:145]
	v_fma_f64 v[136:137], s[28:29], v[132:133], v[130:131]
	v_fma_f64 v[144:145], s[38:39], v[112:113], v[142:143]
	v_fma_f64 v[130:131], v[132:133], s[28:29], -v[130:131]
	v_fmac_f64_e32 v[142:143], s[48:49], v[112:113]
	v_add_f64 v[130:131], v[130:131], v[138:139]
	v_add_f64 v[138:139], v[142:143], v[148:149]
	v_mul_f64 v[142:143], v[114:115], s[46:47]
	v_add_f64 v[136:137], v[136:137], v[146:147]
	v_fma_f64 v[146:147], s[8:9], v[132:133], v[142:143]
	v_fma_f64 v[142:143], v[132:133], s[8:9], -v[142:143]
	v_mul_f64 v[148:149], v[134:135], s[8:9]
	v_add_f64 v[142:143], v[142:143], v[150:151]
	v_mul_f64 v[150:151], v[114:115], s[18:19]
	v_add_f64 v[144:145], v[144:145], v[152:153]
	v_add_f64 v[146:147], v[146:147], v[154:155]
	v_fma_f64 v[152:153], s[14:15], v[112:113], v[148:149]
	v_fmac_f64_e32 v[148:149], s[46:47], v[112:113]
	v_fma_f64 v[154:155], s[12:13], v[132:133], v[150:151]
	v_fma_f64 v[150:151], v[132:133], s[12:13], -v[150:151]
	v_add_f64 v[148:149], v[148:149], v[156:157]
	v_mul_f64 v[156:157], v[134:135], s[12:13]
	v_add_f64 v[150:151], v[150:151], v[158:159]
	v_mul_f64 v[158:159], v[114:115], s[42:43]
	v_add_f64 v[152:153], v[152:153], v[162:163]
	v_add_f64 v[154:155], v[154:155], v[164:165]
	v_fma_f64 v[162:163], s[40:41], v[112:113], v[156:157]
	v_fmac_f64_e32 v[156:157], s[18:19], v[112:113]
	v_fma_f64 v[164:165], s[36:37], v[132:133], v[158:159]
	v_fma_f64 v[158:159], v[132:133], s[36:37], -v[158:159]
	v_add_f64 v[156:157], v[156:157], v[166:167]
	;; [unrolled: 10-line block ×3, first 2 shown]
	v_mul_f64 v[206:207], v[134:135], s[16:17]
	v_add_f64 v[202:203], v[202:203], v[210:211]
	v_mul_f64 v[210:211], v[114:115], s[10:11]
	v_add_f64 v[200:201], v[200:201], v[208:209]
	v_add_f64 v[204:205], v[204:205], v[212:213]
	v_fma_f64 v[208:209], s[22:23], v[112:113], v[206:207]
	v_fmac_f64_e32 v[206:207], s[54:55], v[112:113]
	v_fma_f64 v[212:213], s[0:1], v[132:133], v[210:211]
	v_fma_f64 v[210:211], v[132:133], s[0:1], -v[210:211]
	v_mul_f64 v[114:115], v[114:115], s[34:35]
	v_add_f64 v[206:207], v[206:207], v[214:215]
	v_mul_f64 v[214:215], v[134:135], s[0:1]
	v_add_f64 v[210:211], v[210:211], v[218:219]
	v_fma_f64 v[218:219], s[24:25], v[132:133], v[114:115]
	v_mul_f64 v[134:135], v[134:135], s[24:25]
	v_fma_f64 v[114:115], v[132:133], s[24:25], -v[114:115]
	v_add_f64 v[212:213], v[212:213], v[220:221]
	v_fma_f64 v[220:221], s[52:53], v[112:113], v[134:135]
	v_add_f64 v[114:115], v[114:115], v[126:127]
	v_fmac_f64_e32 v[134:135], s[34:35], v[112:113]
	v_add_f64 v[126:127], v[106:107], v[110:111]
	v_add_f64 v[106:107], v[106:107], -v[110:111]
	v_add_f64 v[208:209], v[208:209], v[216:217]
	v_fma_f64 v[216:217], s[30:31], v[112:113], v[214:215]
	v_fmac_f64_e32 v[214:215], s[10:11], v[112:113]
	v_add_f64 v[112:113], v[134:135], v[124:125]
	v_add_f64 v[124:125], v[104:105], v[108:109]
	v_add_f64 v[104:105], v[104:105], -v[108:109]
	v_mul_f64 v[108:109], v[106:107], s[34:35]
	v_fma_f64 v[110:111], s[24:25], v[124:125], v[108:109]
	v_add_f64 v[110:111], v[110:111], v[118:119]
	v_mul_f64 v[118:119], v[126:127], s[24:25]
	v_fma_f64 v[132:133], s[52:53], v[104:105], v[118:119]
	v_fma_f64 v[108:109], v[124:125], s[24:25], -v[108:109]
	v_fmac_f64_e32 v[118:119], s[34:35], v[104:105]
	v_add_f64 v[108:109], v[108:109], v[116:117]
	v_add_f64 v[116:117], v[118:119], v[128:129]
	v_mul_f64 v[118:119], v[106:107], s[44:45]
	v_fma_f64 v[128:129], s[20:21], v[124:125], v[118:119]
	v_mul_f64 v[134:135], v[126:127], s[20:21]
	v_add_f64 v[128:129], v[128:129], v[136:137]
	v_fma_f64 v[136:137], s[26:27], v[104:105], v[134:135]
	v_fma_f64 v[118:119], v[124:125], s[20:21], -v[118:119]
	v_fmac_f64_e32 v[134:135], s[44:45], v[104:105]
	v_add_f64 v[118:119], v[118:119], v[130:131]
	v_add_f64 v[130:131], v[134:135], v[138:139]
	v_mul_f64 v[134:135], v[106:107], s[10:11]
	v_fma_f64 v[138:139], s[0:1], v[124:125], v[134:135]
	v_fma_f64 v[134:135], v[124:125], s[0:1], -v[134:135]
	v_add_f64 v[132:133], v[132:133], v[140:141]
	v_mul_f64 v[140:141], v[126:127], s[0:1]
	v_add_f64 v[134:135], v[134:135], v[142:143]
	v_mul_f64 v[142:143], v[106:107], s[38:39]
	v_add_f64 v[136:137], v[136:137], v[144:145]
	v_add_f64 v[138:139], v[138:139], v[146:147]
	v_fma_f64 v[144:145], s[30:31], v[104:105], v[140:141]
	v_fmac_f64_e32 v[140:141], s[10:11], v[104:105]
	v_fma_f64 v[146:147], s[28:29], v[124:125], v[142:143]
	v_fma_f64 v[142:143], v[124:125], s[28:29], -v[142:143]
	v_add_f64 v[140:141], v[140:141], v[148:149]
	v_mul_f64 v[148:149], v[126:127], s[28:29]
	v_add_f64 v[142:143], v[142:143], v[150:151]
	v_mul_f64 v[150:151], v[106:107], s[54:55]
	v_add_f64 v[144:145], v[144:145], v[152:153]
	v_add_f64 v[146:147], v[146:147], v[154:155]
	v_fma_f64 v[152:153], s[48:49], v[104:105], v[148:149]
	v_fmac_f64_e32 v[148:149], s[38:39], v[104:105]
	;; [unrolled: 10-line block ×4, first 2 shown]
	v_fma_f64 v[204:205], s[36:37], v[124:125], v[202:203]
	v_fma_f64 v[202:203], v[124:125], s[36:37], -v[202:203]
	v_mul_f64 v[106:107], v[106:107], s[40:41]
	v_add_f64 v[166:167], v[166:167], v[206:207]
	v_mul_f64 v[206:207], v[126:127], s[36:37]
	v_add_f64 v[202:203], v[202:203], v[210:211]
	v_fma_f64 v[210:211], s[12:13], v[124:125], v[106:107]
	v_mul_f64 v[126:127], v[126:127], s[12:13]
	v_fma_f64 v[106:107], v[124:125], s[12:13], -v[106:107]
	v_add_f64 v[204:205], v[204:205], v[212:213]
	v_fma_f64 v[212:213], s[18:19], v[104:105], v[126:127]
	v_add_f64 v[106:107], v[106:107], v[114:115]
	v_fmac_f64_e32 v[126:127], s[40:41], v[104:105]
	v_add_f64 v[114:115], v[98:99], v[102:103]
	v_add_f64 v[98:99], v[98:99], -v[102:103]
	v_add_f64 v[200:201], v[200:201], v[208:209]
	v_fma_f64 v[208:209], s[50:51], v[104:105], v[206:207]
	v_fmac_f64_e32 v[206:207], s[42:43], v[104:105]
	v_add_f64 v[104:105], v[126:127], v[112:113]
	v_add_f64 v[112:113], v[96:97], v[100:101]
	v_add_f64 v[96:97], v[96:97], -v[100:101]
	v_mul_f64 v[100:101], v[98:99], s[38:39]
	v_fma_f64 v[102:103], s[28:29], v[112:113], v[100:101]
	v_add_f64 v[102:103], v[102:103], v[110:111]
	v_mul_f64 v[110:111], v[114:115], s[28:29]
	v_fma_f64 v[124:125], s[48:49], v[96:97], v[110:111]
	v_fma_f64 v[100:101], v[112:113], s[28:29], -v[100:101]
	v_fmac_f64_e32 v[110:111], s[38:39], v[96:97]
	v_add_f64 v[100:101], v[100:101], v[108:109]
	v_add_f64 v[108:109], v[110:111], v[116:117]
	v_mul_f64 v[110:111], v[98:99], s[40:41]
	v_fma_f64 v[116:117], s[12:13], v[112:113], v[110:111]
	v_mul_f64 v[126:127], v[114:115], s[12:13]
	v_add_f64 v[116:117], v[116:117], v[128:129]
	v_fma_f64 v[128:129], s[18:19], v[96:97], v[126:127]
	v_fma_f64 v[110:111], v[112:113], s[12:13], -v[110:111]
	v_fmac_f64_e32 v[126:127], s[40:41], v[96:97]
	v_add_f64 v[110:111], v[110:111], v[118:119]
	v_add_f64 v[118:119], v[126:127], v[130:131]
	v_mul_f64 v[126:127], v[98:99], s[22:23]
	v_fma_f64 v[130:131], s[16:17], v[112:113], v[126:127]
	v_fma_f64 v[126:127], v[112:113], s[16:17], -v[126:127]
	v_add_f64 v[124:125], v[124:125], v[132:133]
	v_mul_f64 v[132:133], v[114:115], s[16:17]
	v_add_f64 v[126:127], v[126:127], v[134:135]
	v_mul_f64 v[134:135], v[98:99], s[52:53]
	v_add_f64 v[128:129], v[128:129], v[136:137]
	v_add_f64 v[130:131], v[130:131], v[138:139]
	v_fma_f64 v[136:137], s[54:55], v[96:97], v[132:133]
	v_fmac_f64_e32 v[132:133], s[22:23], v[96:97]
	v_fma_f64 v[138:139], s[24:25], v[112:113], v[134:135]
	v_fma_f64 v[134:135], v[112:113], s[24:25], -v[134:135]
	v_add_f64 v[132:133], v[132:133], v[140:141]
	v_mul_f64 v[140:141], v[114:115], s[24:25]
	v_add_f64 v[134:135], v[134:135], v[142:143]
	v_mul_f64 v[142:143], v[98:99], s[10:11]
	v_add_f64 v[136:137], v[136:137], v[144:145]
	v_add_f64 v[138:139], v[138:139], v[146:147]
	v_fma_f64 v[144:145], s[34:35], v[96:97], v[140:141]
	v_fmac_f64_e32 v[140:141], s[52:53], v[96:97]
	v_fma_f64 v[146:147], s[0:1], v[112:113], v[142:143]
	v_fma_f64 v[142:143], v[112:113], s[0:1], -v[142:143]
	v_add_f64 v[242:243], v[242:243], v[250:251]
	v_add_f64 v[244:245], v[244:245], v[252:253]
	;; [unrolled: 1-line block ×3, first 2 shown]
	v_mul_f64 v[148:149], v[114:115], s[0:1]
	v_add_f64 v[142:143], v[142:143], v[150:151]
	v_mul_f64 v[150:151], v[98:99], s[42:43]
	v_add_f64 v[240:241], v[240:241], v[248:249]
	v_add_f64 v[246:247], v[246:247], v[254:255]
	;; [unrolled: 1-line block ×6, first 2 shown]
	v_fma_f64 v[152:153], s[30:31], v[96:97], v[148:149]
	v_fmac_f64_e32 v[148:149], s[10:11], v[96:97]
	v_fma_f64 v[154:155], s[36:37], v[112:113], v[150:151]
	v_fma_f64 v[150:151], v[112:113], s[36:37], -v[150:151]
	v_add_f64 v[230:231], v[230:231], v[240:241]
	v_add_f64 v[236:237], v[236:237], v[246:247]
	;; [unrolled: 1-line block ×5, first 2 shown]
	v_mul_f64 v[156:157], v[114:115], s[36:37]
	v_add_f64 v[150:151], v[150:151], v[158:159]
	v_mul_f64 v[158:159], v[98:99], s[46:47]
	v_add_f64 v[222:223], v[222:223], v[230:231]
	v_add_f64 v[228:229], v[228:229], v[236:237]
	;; [unrolled: 1-line block ×6, first 2 shown]
	v_fma_f64 v[162:163], s[50:51], v[96:97], v[156:157]
	v_fmac_f64_e32 v[156:157], s[42:43], v[96:97]
	v_fma_f64 v[164:165], s[8:9], v[112:113], v[158:159]
	v_fma_f64 v[158:159], v[112:113], s[8:9], -v[158:159]
	v_mul_f64 v[98:99], v[98:99], s[26:27]
	v_add_f64 v[214:215], v[214:215], v[222:223]
	v_add_f64 v[220:221], v[220:221], v[228:229]
	;; [unrolled: 1-line block ×5, first 2 shown]
	v_mul_f64 v[166:167], v[114:115], s[8:9]
	v_add_f64 v[158:159], v[158:159], v[202:203]
	v_fma_f64 v[202:203], s[20:21], v[112:113], v[98:99]
	v_mul_f64 v[114:115], v[114:115], s[20:21]
	v_add_f64 v[216:217], v[90:91], -v[94:95]
	v_add_f64 v[206:207], v[206:207], v[214:215]
	v_add_f64 v[212:213], v[212:213], v[220:221]
	;; [unrolled: 1-line block ×4, first 2 shown]
	v_fma_f64 v[204:205], s[44:45], v[96:97], v[114:115]
	v_add_f64 v[210:211], v[88:89], v[92:93]
	v_add_f64 v[214:215], v[88:89], -v[92:93]
	v_mul_f64 v[92:93], v[216:217], s[42:43]
	v_add_f64 v[204:205], v[204:205], v[212:213]
	v_add_f64 v[212:213], v[90:91], v[94:95]
	v_fma_f64 v[88:89], s[36:37], v[210:211], v[92:93]
	v_fma_f64 v[92:93], v[210:211], s[36:37], -v[92:93]
	v_mul_f64 v[94:95], v[212:213], s[36:37]
	v_add_f64 v[92:93], v[92:93], v[100:101]
	v_mul_f64 v[100:101], v[216:217], s[30:31]
	v_add_f64 v[162:163], v[162:163], v[200:201]
	v_fma_f64 v[200:201], s[14:15], v[96:97], v[166:167]
	v_fmac_f64_e32 v[166:167], s[46:47], v[96:97]
	v_fmac_f64_e32 v[114:115], s[26:27], v[96:97]
	v_fma_f64 v[90:91], s[50:51], v[214:215], v[94:95]
	v_fmac_f64_e32 v[94:95], s[42:43], v[214:215]
	v_fma_f64 v[96:97], s[0:1], v[210:211], v[100:101]
	v_fma_f64 v[100:101], v[210:211], s[0:1], -v[100:101]
	v_fma_f64 v[98:99], v[112:113], s[20:21], -v[98:99]
	v_add_f64 v[88:89], v[88:89], v[102:103]
	v_add_f64 v[94:95], v[94:95], v[108:109]
	v_mul_f64 v[102:103], v[212:213], s[0:1]
	v_add_f64 v[100:101], v[100:101], v[110:111]
	v_mul_f64 v[108:109], v[216:217], s[38:39]
	v_mul_f64 v[110:111], v[212:213], s[28:29]
	v_add_f64 v[200:201], v[200:201], v[208:209]
	v_add_f64 v[166:167], v[166:167], v[206:207]
	;; [unrolled: 1-line block ×4, first 2 shown]
	v_fma_f64 v[98:99], s[10:11], v[214:215], v[102:103]
	v_fmac_f64_e32 v[102:103], s[30:31], v[214:215]
	v_fma_f64 v[104:105], s[28:29], v[210:211], v[108:109]
	v_fma_f64 v[106:107], s[48:49], v[214:215], v[110:111]
	v_add_f64 v[96:97], v[96:97], v[116:117]
	v_add_f64 v[98:99], v[98:99], v[128:129]
	v_add_f64 v[102:103], v[102:103], v[118:119]
	v_add_f64 v[104:105], v[104:105], v[130:131]
	v_add_f64 v[106:107], v[106:107], v[136:137]
	v_fma_f64 v[108:109], v[210:211], s[28:29], -v[108:109]
	v_fmac_f64_e32 v[110:111], s[38:39], v[214:215]
	v_mul_f64 v[116:117], v[216:217], s[46:47]
	v_mul_f64 v[118:119], v[212:213], s[8:9]
	;; [unrolled: 1-line block ×5, first 2 shown]
	v_add_f64 v[90:91], v[90:91], v[124:125]
	v_add_f64 v[108:109], v[108:109], v[126:127]
	;; [unrolled: 1-line block ×3, first 2 shown]
	v_fma_f64 v[112:113], s[8:9], v[210:211], v[116:117]
	v_fma_f64 v[114:115], s[14:15], v[214:215], v[118:119]
	;; [unrolled: 1-line block ×5, first 2 shown]
	v_add_f64 v[112:113], v[112:113], v[138:139]
	v_add_f64 v[114:115], v[114:115], v[144:145]
	v_fma_f64 v[116:117], v[210:211], s[8:9], -v[116:117]
	v_fmac_f64_e32 v[118:119], s[46:47], v[214:215]
	v_add_f64 v[124:125], v[124:125], v[146:147]
	v_add_f64 v[126:127], v[126:127], v[152:153]
	v_fma_f64 v[128:129], v[210:211], s[24:25], -v[128:129]
	v_fmac_f64_e32 v[130:131], s[34:35], v[214:215]
	v_add_f64 v[132:133], v[132:133], v[154:155]
	v_mul_f64 v[138:139], v[212:213], s[12:13]
	v_fma_f64 v[136:137], v[210:211], s[12:13], -v[136:137]
	v_mul_f64 v[144:145], v[216:217], s[26:27]
	v_mul_f64 v[146:147], v[212:213], s[20:21]
	;; [unrolled: 1-line block ×4, first 2 shown]
	v_add_f64 v[116:117], v[116:117], v[134:135]
	v_add_f64 v[118:119], v[118:119], v[140:141]
	;; [unrolled: 1-line block ×4, first 2 shown]
	v_fma_f64 v[134:135], s[18:19], v[214:215], v[138:139]
	v_add_f64 v[136:137], v[136:137], v[150:151]
	v_fmac_f64_e32 v[138:139], s[40:41], v[214:215]
	v_fma_f64 v[140:141], s[20:21], v[210:211], v[144:145]
	v_fma_f64 v[142:143], s[44:45], v[214:215], v[146:147]
	v_fma_f64 v[144:145], v[210:211], s[20:21], -v[144:145]
	v_fmac_f64_e32 v[146:147], s[26:27], v[214:215]
	v_fma_f64 v[148:149], s[16:17], v[210:211], v[152:153]
	v_fma_f64 v[150:151], s[22:23], v[214:215], v[154:155]
	v_fma_f64 v[152:153], v[210:211], s[16:17], -v[152:153]
	v_fmac_f64_e32 v[154:155], s[54:55], v[214:215]
	v_add_f64 v[134:135], v[134:135], v[162:163]
	v_add_f64 v[138:139], v[138:139], v[156:157]
	;; [unrolled: 1-line block ×10, first 2 shown]
	s_waitcnt lgkmcnt(0)
	; wave barrier
	ds_write_b128 v161, v[120:123]
	ds_write_b128 v161, v[88:91] offset:16
	ds_write_b128 v161, v[96:99] offset:32
	;; [unrolled: 1-line block ×16, first 2 shown]
	s_and_saveexec_b64 s[56:57], vcc
	s_cbranch_execz .LBB0_13
; %bb.12:
	v_accvgpr_read_b32 v64, a94
	v_accvgpr_read_b32 v65, a95
	v_accvgpr_read_b32 v66, a96
	v_accvgpr_read_b32 v67, a97
	v_accvgpr_write_b32 a97, v47
	v_accvgpr_write_b32 a96, v46
	v_accvgpr_write_b32 a95, v45
	v_accvgpr_write_b32 a94, v44
	v_accvgpr_read_b32 v44, a90
	v_accvgpr_read_b32 v45, a91
	v_accvgpr_read_b32 v46, a92
	v_accvgpr_read_b32 v47, a93
	v_accvgpr_write_b32 a93, v43
	v_accvgpr_write_b32 a92, v42
	v_accvgpr_write_b32 a91, v41
	v_accvgpr_write_b32 a90, v40
	;; [unrolled: 8-line block ×4, first 2 shown]
	v_accvgpr_read_b32 v28, a74
	v_accvgpr_read_b32 v32, a78
	;; [unrolled: 1-line block ×6, first 2 shown]
	v_add_f64 v[220:221], v[0:1], -v[28:29]
	v_accvgpr_read_b32 v34, a80
	v_accvgpr_read_b32 v35, a81
	v_add_f64 v[218:219], v[4:5], -v[32:33]
	v_mul_f64 v[116:117], v[220:221], s[42:43]
	v_add_f64 v[154:155], v[2:3], v[30:31]
	v_add_f64 v[236:237], v[2:3], -v[30:31]
	v_add_f64 v[216:217], v[52:53], -v[36:37]
	v_mul_f64 v[112:113], v[218:219], s[30:31]
	v_add_f64 v[152:153], v[6:7], v[34:35]
	v_fma_f64 v[118:119], s[36:37], v[154:155], v[116:117]
	v_add_f64 v[234:235], v[6:7], -v[34:35]
	v_add_f64 v[204:205], v[0:1], v[28:29]
	v_mul_f64 v[134:135], v[236:237], s[42:43]
	v_add_f64 v[214:215], v[8:9], -v[40:41]
	v_mul_f64 v[108:109], v[216:217], s[38:39]
	v_add_f64 v[150:151], v[54:55], v[38:39]
	v_fma_f64 v[114:115], s[0:1], v[152:153], v[112:113]
	v_add_f64 v[118:119], v[50:51], v[118:119]
	v_add_f64 v[232:233], v[54:55], -v[38:39]
	v_add_f64 v[202:203], v[4:5], v[32:33]
	v_mul_f64 v[130:131], v[234:235], s[30:31]
	v_fma_f64 v[136:137], v[204:205], s[36:37], -v[134:135]
	v_accvgpr_read_b32 v68, a98
	v_add_f64 v[212:213], v[12:13], -v[44:45]
	v_mul_f64 v[104:105], v[214:215], s[46:47]
	v_add_f64 v[148:149], v[10:11], v[42:43]
	v_fma_f64 v[110:111], s[28:29], v[150:151], v[108:109]
	v_add_f64 v[114:115], v[114:115], v[118:119]
	v_add_f64 v[230:231], v[10:11], -v[42:43]
	v_add_f64 v[200:201], v[52:53], v[36:37]
	v_mul_f64 v[126:127], v[232:233], s[38:39]
	v_fma_f64 v[132:133], v[202:203], s[0:1], -v[130:131]
	v_add_f64 v[136:137], v[48:49], v[136:137]
	v_accvgpr_read_b32 v69, a99
	v_add_f64 v[210:211], v[56:57], -v[64:65]
	v_mul_f64 v[100:101], v[212:213], s[34:35]
	v_add_f64 v[146:147], v[14:15], v[46:47]
	v_fma_f64 v[106:107], s[8:9], v[148:149], v[104:105]
	v_add_f64 v[110:111], v[110:111], v[114:115]
	v_add_f64 v[228:229], v[14:15], -v[46:47]
	v_add_f64 v[166:167], v[8:9], v[40:41]
	v_mul_f64 v[122:123], v[230:231], s[46:47]
	v_fma_f64 v[128:129], v[200:201], s[28:29], -v[126:127]
	v_add_f64 v[132:133], v[132:133], v[136:137]
	v_accvgpr_read_b32 v70, a100
	v_accvgpr_read_b32 v71, a101
	v_add_f64 v[208:209], v[16:17], -v[68:69]
	v_mul_f64 v[96:97], v[210:211], s[40:41]
	v_add_f64 v[144:145], v[58:59], v[66:67]
	v_fma_f64 v[102:103], s[24:25], v[146:147], v[100:101]
	v_add_f64 v[106:107], v[106:107], v[110:111]
	v_add_f64 v[226:227], v[58:59], -v[66:67]
	v_add_f64 v[164:165], v[12:13], v[44:45]
	v_mul_f64 v[118:119], v[228:229], s[34:35]
	v_fma_f64 v[124:125], v[166:167], s[8:9], -v[122:123]
	v_add_f64 v[128:129], v[128:129], v[132:133]
	v_add_f64 v[206:207], v[20:21], -v[60:61]
	v_mul_f64 v[94:95], v[208:209], s[26:27]
	v_add_f64 v[142:143], v[18:19], v[70:71]
	v_fma_f64 v[98:99], s[12:13], v[144:145], v[96:97]
	v_add_f64 v[102:103], v[102:103], v[106:107]
	v_add_f64 v[224:225], v[18:19], -v[70:71]
	v_add_f64 v[162:163], v[56:57], v[64:65]
	v_mul_f64 v[110:111], v[226:227], s[40:41]
	v_fma_f64 v[120:121], v[164:165], s[24:25], -v[118:119]
	v_add_f64 v[124:125], v[124:125], v[128:129]
	v_mul_f64 v[92:93], v[206:207], s[54:55]
	v_add_f64 v[140:141], v[22:23], v[62:63]
	v_fma_f64 v[90:91], s[20:21], v[142:143], v[94:95]
	v_add_f64 v[98:99], v[98:99], v[102:103]
	v_add_f64 v[222:223], v[22:23], -v[62:63]
	v_add_f64 v[158:159], v[16:17], v[68:69]
	v_mul_f64 v[102:103], v[224:225], s[26:27]
	v_fma_f64 v[114:115], v[162:163], s[12:13], -v[110:111]
	v_add_f64 v[120:121], v[120:121], v[124:125]
	v_fma_f64 v[88:89], s[16:17], v[140:141], v[92:93]
	v_add_f64 v[90:91], v[90:91], v[98:99]
	v_add_f64 v[156:157], v[20:21], v[60:61]
	v_mul_f64 v[98:99], v[222:223], s[54:55]
	v_fma_f64 v[106:107], v[158:159], s[20:21], -v[102:103]
	v_add_f64 v[114:115], v[114:115], v[120:121]
	v_add_f64 v[90:91], v[88:89], v[90:91]
	v_fma_f64 v[88:89], v[156:157], s[16:17], -v[98:99]
	v_add_f64 v[106:107], v[106:107], v[114:115]
	v_add_f64 v[88:89], v[88:89], v[106:107]
	v_fma_f64 v[106:107], v[150:151], s[28:29], -v[108:109]
	v_fma_f64 v[108:109], v[152:153], s[0:1], -v[112:113]
	;; [unrolled: 1-line block ×3, first 2 shown]
	v_add_f64 v[112:113], v[50:51], v[112:113]
	v_add_f64 v[108:109], v[108:109], v[112:113]
	v_fma_f64 v[104:105], v[148:149], s[8:9], -v[104:105]
	v_add_f64 v[106:107], v[106:107], v[108:109]
	v_fma_f64 v[100:101], v[146:147], s[24:25], -v[100:101]
	;; [unrolled: 2-line block ×5, first 2 shown]
	v_add_f64 v[94:95], v[94:95], v[96:97]
	v_fmac_f64_e32 v[134:135], s[36:37], v[204:205]
	v_add_f64 v[94:95], v[92:93], v[94:95]
	v_fmac_f64_e32 v[130:131], s[0:1], v[202:203]
	;; [unrolled: 2-line block ×3, first 2 shown]
	v_add_f64 v[92:93], v[130:131], v[92:93]
	v_mul_f64 v[124:125], v[220:221], s[38:39]
	v_fmac_f64_e32 v[122:123], s[8:9], v[166:167]
	v_add_f64 v[92:93], v[126:127], v[92:93]
	v_mul_f64 v[120:121], v[218:219], s[40:41]
	v_fma_f64 v[126:127], s[28:29], v[154:155], v[124:125]
	v_mul_f64 v[242:243], v[236:237], s[38:39]
	v_fmac_f64_e32 v[118:119], s[24:25], v[164:165]
	v_add_f64 v[92:93], v[122:123], v[92:93]
	v_mul_f64 v[116:117], v[216:217], s[22:23]
	v_fma_f64 v[122:123], s[12:13], v[152:153], v[120:121]
	v_add_f64 v[126:127], v[50:51], v[126:127]
	v_mul_f64 v[138:139], v[234:235], s[40:41]
	v_fma_f64 v[244:245], v[204:205], s[28:29], -v[242:243]
	v_add_f64 v[92:93], v[118:119], v[92:93]
	v_mul_f64 v[112:113], v[214:215], s[52:53]
	v_fma_f64 v[118:119], s[16:17], v[150:151], v[116:117]
	v_add_f64 v[122:123], v[122:123], v[126:127]
	v_mul_f64 v[134:135], v[232:233], s[22:23]
	v_fma_f64 v[240:241], v[202:203], s[12:13], -v[138:139]
	v_add_f64 v[244:245], v[48:49], v[244:245]
	v_fmac_f64_e32 v[110:111], s[12:13], v[162:163]
	v_mul_f64 v[108:109], v[212:213], s[10:11]
	v_fma_f64 v[114:115], s[24:25], v[148:149], v[112:113]
	v_add_f64 v[118:119], v[118:119], v[122:123]
	v_mul_f64 v[130:131], v[230:231], s[52:53]
	v_fma_f64 v[136:137], v[200:201], s[16:17], -v[134:135]
	v_add_f64 v[240:241], v[240:241], v[244:245]
	v_fmac_f64_e32 v[102:103], s[20:21], v[158:159]
	v_add_f64 v[92:93], v[110:111], v[92:93]
	v_mul_f64 v[104:105], v[210:211], s[42:43]
	v_fma_f64 v[110:111], s[0:1], v[146:147], v[108:109]
	v_add_f64 v[114:115], v[114:115], v[118:119]
	v_mul_f64 v[126:127], v[228:229], s[10:11]
	v_fma_f64 v[132:133], v[166:167], s[24:25], -v[130:131]
	v_add_f64 v[136:137], v[136:137], v[240:241]
	v_fmac_f64_e32 v[98:99], s[16:17], v[156:157]
	v_add_f64 v[92:93], v[102:103], v[92:93]
	v_mul_f64 v[102:103], v[208:209], s[46:47]
	v_fma_f64 v[106:107], s[36:37], v[144:145], v[104:105]
	v_add_f64 v[110:111], v[110:111], v[114:115]
	v_mul_f64 v[118:119], v[226:227], s[42:43]
	v_fma_f64 v[128:129], v[164:165], s[0:1], -v[126:127]
	v_add_f64 v[132:133], v[132:133], v[136:137]
	v_add_f64 v[92:93], v[98:99], v[92:93]
	v_mul_f64 v[100:101], v[206:207], s[26:27]
	v_fma_f64 v[98:99], s[8:9], v[142:143], v[102:103]
	v_add_f64 v[106:107], v[106:107], v[110:111]
	v_mul_f64 v[110:111], v[224:225], s[46:47]
	v_fma_f64 v[122:123], v[162:163], s[36:37], -v[118:119]
	v_add_f64 v[128:129], v[128:129], v[132:133]
	v_fma_f64 v[96:97], s[20:21], v[140:141], v[100:101]
	v_add_f64 v[98:99], v[98:99], v[106:107]
	v_mul_f64 v[106:107], v[222:223], s[26:27]
	v_fma_f64 v[114:115], v[158:159], s[8:9], -v[110:111]
	v_add_f64 v[122:123], v[122:123], v[128:129]
	v_add_f64 v[98:99], v[96:97], v[98:99]
	v_fma_f64 v[96:97], v[156:157], s[20:21], -v[106:107]
	v_add_f64 v[114:115], v[114:115], v[122:123]
	v_add_f64 v[96:97], v[96:97], v[114:115]
	v_fma_f64 v[114:115], v[150:151], s[16:17], -v[116:117]
	v_fma_f64 v[116:117], v[152:153], s[12:13], -v[120:121]
	;; [unrolled: 1-line block ×3, first 2 shown]
	v_add_f64 v[120:121], v[50:51], v[120:121]
	v_add_f64 v[116:117], v[116:117], v[120:121]
	v_fma_f64 v[112:113], v[148:149], s[24:25], -v[112:113]
	v_add_f64 v[114:115], v[114:115], v[116:117]
	v_fma_f64 v[108:109], v[146:147], s[0:1], -v[108:109]
	;; [unrolled: 2-line block ×5, first 2 shown]
	v_add_f64 v[102:103], v[102:103], v[104:105]
	v_fmac_f64_e32 v[242:243], s[28:29], v[204:205]
	v_add_f64 v[102:103], v[100:101], v[102:103]
	v_fmac_f64_e32 v[138:139], s[12:13], v[202:203]
	;; [unrolled: 2-line block ×3, first 2 shown]
	v_add_f64 v[100:101], v[138:139], v[100:101]
	v_mul_f64 v[132:133], v[220:221], s[34:35]
	v_fmac_f64_e32 v[130:131], s[24:25], v[166:167]
	v_add_f64 v[100:101], v[134:135], v[100:101]
	v_mul_f64 v[128:129], v[218:219], s[44:45]
	v_fma_f64 v[134:135], s[24:25], v[154:155], v[132:133]
	v_mul_f64 v[250:251], v[236:237], s[34:35]
	v_fmac_f64_e32 v[126:127], s[0:1], v[164:165]
	v_add_f64 v[100:101], v[130:131], v[100:101]
	v_mul_f64 v[124:125], v[216:217], s[10:11]
	v_fma_f64 v[130:131], s[20:21], v[152:153], v[128:129]
	v_add_f64 v[134:135], v[50:51], v[134:135]
	v_mul_f64 v[246:247], v[234:235], s[44:45]
	v_fma_f64 v[252:253], v[204:205], s[24:25], -v[250:251]
	v_add_f64 v[100:101], v[126:127], v[100:101]
	v_mul_f64 v[120:121], v[214:215], s[38:39]
	v_fma_f64 v[126:127], s[0:1], v[150:151], v[124:125]
	v_add_f64 v[130:131], v[130:131], v[134:135]
	v_mul_f64 v[242:243], v[232:233], s[10:11]
	v_fma_f64 v[248:249], v[202:203], s[20:21], -v[246:247]
	v_add_f64 v[252:253], v[48:49], v[252:253]
	v_fmac_f64_e32 v[118:119], s[36:37], v[162:163]
	v_mul_f64 v[116:117], v[212:213], s[54:55]
	v_fma_f64 v[122:123], s[28:29], v[148:149], v[120:121]
	v_add_f64 v[126:127], v[126:127], v[130:131]
	v_mul_f64 v[138:139], v[230:231], s[38:39]
	v_fma_f64 v[244:245], v[200:201], s[0:1], -v[242:243]
	v_add_f64 v[248:249], v[248:249], v[252:253]
	v_fmac_f64_e32 v[110:111], s[8:9], v[158:159]
	v_add_f64 v[100:101], v[118:119], v[100:101]
	v_mul_f64 v[112:113], v[210:211], s[14:15]
	v_fma_f64 v[118:119], s[16:17], v[146:147], v[116:117]
	v_add_f64 v[122:123], v[122:123], v[126:127]
	v_mul_f64 v[134:135], v[228:229], s[54:55]
	v_fma_f64 v[240:241], v[166:167], s[28:29], -v[138:139]
	v_add_f64 v[244:245], v[244:245], v[248:249]
	v_fmac_f64_e32 v[106:107], s[20:21], v[156:157]
	v_add_f64 v[100:101], v[110:111], v[100:101]
	v_mul_f64 v[110:111], v[208:209], s[42:43]
	v_fma_f64 v[114:115], s[8:9], v[144:145], v[112:113]
	v_add_f64 v[118:119], v[118:119], v[122:123]
	v_mul_f64 v[126:127], v[226:227], s[14:15]
	v_fma_f64 v[136:137], v[164:165], s[16:17], -v[134:135]
	v_add_f64 v[240:241], v[240:241], v[244:245]
	v_add_f64 v[100:101], v[106:107], v[100:101]
	v_mul_f64 v[108:109], v[206:207], s[40:41]
	v_fma_f64 v[106:107], s[36:37], v[142:143], v[110:111]
	v_add_f64 v[114:115], v[114:115], v[118:119]
	v_mul_f64 v[118:119], v[224:225], s[42:43]
	v_fma_f64 v[130:131], v[162:163], s[8:9], -v[126:127]
	v_add_f64 v[136:137], v[136:137], v[240:241]
	v_fma_f64 v[104:105], s[12:13], v[140:141], v[108:109]
	v_add_f64 v[106:107], v[106:107], v[114:115]
	v_mul_f64 v[114:115], v[222:223], s[40:41]
	v_fma_f64 v[122:123], v[158:159], s[36:37], -v[118:119]
	v_add_f64 v[130:131], v[130:131], v[136:137]
	v_add_f64 v[106:107], v[104:105], v[106:107]
	v_fma_f64 v[104:105], v[156:157], s[12:13], -v[114:115]
	v_add_f64 v[122:123], v[122:123], v[130:131]
	v_add_f64 v[104:105], v[104:105], v[122:123]
	v_fma_f64 v[122:123], v[150:151], s[0:1], -v[124:125]
	v_fma_f64 v[124:125], v[152:153], s[20:21], -v[128:129]
	;; [unrolled: 1-line block ×3, first 2 shown]
	v_add_f64 v[128:129], v[50:51], v[128:129]
	v_add_f64 v[124:125], v[124:125], v[128:129]
	v_fma_f64 v[120:121], v[148:149], s[28:29], -v[120:121]
	v_add_f64 v[122:123], v[122:123], v[124:125]
	v_fma_f64 v[116:117], v[146:147], s[16:17], -v[116:117]
	v_add_f64 v[120:121], v[120:121], v[122:123]
	v_fma_f64 v[112:113], v[144:145], s[8:9], -v[112:113]
	v_add_f64 v[116:117], v[116:117], v[120:121]
	v_fma_f64 v[110:111], v[142:143], s[36:37], -v[110:111]
	v_add_f64 v[112:113], v[112:113], v[116:117]
	v_fma_f64 v[108:109], v[140:141], s[12:13], -v[108:109]
	v_add_f64 v[110:111], v[110:111], v[112:113]
	v_fmac_f64_e32 v[250:251], s[24:25], v[204:205]
	v_add_f64 v[110:111], v[108:109], v[110:111]
	v_fmac_f64_e32 v[246:247], s[20:21], v[202:203]
	;; [unrolled: 2-line block ×3, first 2 shown]
	v_add_f64 v[108:109], v[246:247], v[108:109]
	v_mul_f64 v[240:241], v[220:221], s[26:27]
	v_mov_b64_e32 v[74:75], v[2:3]
	v_fmac_f64_e32 v[138:139], s[28:29], v[166:167]
	v_add_f64 v[108:109], v[242:243], v[108:109]
	v_mul_f64 v[136:137], v[218:219], s[48:49]
	v_fma_f64 v[242:243], s[20:21], v[154:155], v[240:241]
	v_mov_b64_e32 v[72:73], v[0:1]
	v_mul_f64 v[2:3], v[236:237], s[26:27]
	v_mov_b64_e32 v[78:79], v[6:7]
	v_fmac_f64_e32 v[134:135], s[16:17], v[164:165]
	v_add_f64 v[108:109], v[138:139], v[108:109]
	v_mul_f64 v[132:133], v[216:217], s[46:47]
	v_fma_f64 v[138:139], s[28:29], v[152:153], v[136:137]
	v_add_f64 v[242:243], v[50:51], v[242:243]
	v_mul_f64 v[254:255], v[234:235], s[48:49]
	v_mov_b64_e32 v[76:77], v[4:5]
	v_fma_f64 v[4:5], v[204:205], s[20:21], -v[2:3]
	v_add_f64 v[108:109], v[134:135], v[108:109]
	v_mul_f64 v[128:129], v[214:215], s[18:19]
	v_fma_f64 v[134:135], s[8:9], v[150:151], v[132:133]
	v_add_f64 v[138:139], v[138:139], v[242:243]
	v_mul_f64 v[250:251], v[232:233], s[46:47]
	v_fma_f64 v[0:1], v[202:203], s[28:29], -v[254:255]
	v_add_f64 v[4:5], v[48:49], v[4:5]
	v_fmac_f64_e32 v[126:127], s[8:9], v[162:163]
	v_mul_f64 v[124:125], v[212:213], s[42:43]
	v_fma_f64 v[130:131], s[12:13], v[148:149], v[128:129]
	v_add_f64 v[134:135], v[134:135], v[138:139]
	v_mul_f64 v[246:247], v[230:231], s[18:19]
	v_fma_f64 v[252:253], v[200:201], s[8:9], -v[250:251]
	v_add_f64 v[0:1], v[0:1], v[4:5]
	v_fmac_f64_e32 v[118:119], s[36:37], v[158:159]
	v_add_f64 v[108:109], v[126:127], v[108:109]
	v_mul_f64 v[120:121], v[210:211], s[54:55]
	v_fma_f64 v[126:127], s[36:37], v[146:147], v[124:125]
	v_add_f64 v[130:131], v[130:131], v[134:135]
	v_mul_f64 v[242:243], v[228:229], s[42:43]
	v_fma_f64 v[248:249], v[166:167], s[12:13], -v[246:247]
	v_add_f64 v[0:1], v[252:253], v[0:1]
	v_fmac_f64_e32 v[114:115], s[12:13], v[156:157]
	v_add_f64 v[108:109], v[118:119], v[108:109]
	v_mul_f64 v[118:119], v[208:209], s[10:11]
	v_fma_f64 v[122:123], s[16:17], v[144:145], v[120:121]
	v_add_f64 v[126:127], v[126:127], v[130:131]
	v_mul_f64 v[134:135], v[226:227], s[54:55]
	v_fma_f64 v[244:245], v[164:165], s[36:37], -v[242:243]
	v_add_f64 v[0:1], v[248:249], v[0:1]
	v_add_f64 v[108:109], v[114:115], v[108:109]
	v_mul_f64 v[116:117], v[206:207], s[34:35]
	v_fma_f64 v[114:115], s[0:1], v[142:143], v[118:119]
	v_add_f64 v[122:123], v[122:123], v[126:127]
	v_mul_f64 v[126:127], v[224:225], s[10:11]
	v_fma_f64 v[138:139], v[162:163], s[16:17], -v[134:135]
	v_add_f64 v[0:1], v[244:245], v[0:1]
	v_fma_f64 v[112:113], s[24:25], v[140:141], v[116:117]
	v_add_f64 v[114:115], v[114:115], v[122:123]
	v_mul_f64 v[122:123], v[222:223], s[34:35]
	v_fma_f64 v[130:131], v[158:159], s[0:1], -v[126:127]
	v_add_f64 v[0:1], v[138:139], v[0:1]
	v_add_f64 v[114:115], v[112:113], v[114:115]
	v_fma_f64 v[112:113], v[156:157], s[24:25], -v[122:123]
	v_add_f64 v[0:1], v[130:131], v[0:1]
	v_fma_f64 v[4:5], v[142:143], s[0:1], -v[118:119]
	v_fma_f64 v[118:119], v[148:149], s[12:13], -v[128:129]
	v_fma_f64 v[128:129], v[154:155], s[20:21], -v[240:241]
	v_add_f64 v[112:113], v[112:113], v[0:1]
	v_fma_f64 v[0:1], v[140:141], s[24:25], -v[116:117]
	v_fma_f64 v[116:117], v[146:147], s[36:37], -v[124:125]
	;; [unrolled: 4-line block ×3, first 2 shown]
	v_add_f64 v[124:125], v[124:125], v[128:129]
	v_add_f64 v[120:121], v[120:121], v[124:125]
	;; [unrolled: 1-line block ×6, first 2 shown]
	v_fmac_f64_e32 v[2:3], s[20:21], v[204:205]
	v_add_f64 v[118:119], v[0:1], v[4:5]
	v_fmac_f64_e32 v[254:255], s[28:29], v[202:203]
	v_add_f64 v[0:1], v[48:49], v[2:3]
	;; [unrolled: 2-line block ×5, first 2 shown]
	v_mul_f64 v[240:241], v[220:221], s[22:23]
	v_add_f64 v[0:1], v[242:243], v[0:1]
	v_mul_f64 v[136:137], v[218:219], s[42:43]
	v_fma_f64 v[242:243], s[16:17], v[154:155], v[240:241]
	v_mov_b64_e32 v[82:83], v[10:11]
	v_fmac_f64_e32 v[134:135], s[16:17], v[162:163]
	v_mul_f64 v[132:133], v[216:217], s[44:45]
	v_fma_f64 v[138:139], s[36:37], v[152:153], v[136:137]
	v_add_f64 v[242:243], v[50:51], v[242:243]
	v_mov_b64_e32 v[80:81], v[8:9]
	v_mul_f64 v[10:11], v[236:237], s[22:23]
	v_mov_b64_e32 v[86:87], v[14:15]
	v_fmac_f64_e32 v[126:127], s[0:1], v[158:159]
	v_add_f64 v[0:1], v[134:135], v[0:1]
	v_mul_f64 v[128:129], v[214:215], s[30:31]
	v_fma_f64 v[134:135], s[20:21], v[150:151], v[132:133]
	v_add_f64 v[138:139], v[138:139], v[242:243]
	v_mul_f64 v[254:255], v[234:235], s[42:43]
	v_mov_b64_e32 v[84:85], v[12:13]
	v_fma_f64 v[12:13], v[204:205], s[16:17], -v[10:11]
	v_fmac_f64_e32 v[122:123], s[24:25], v[156:157]
	v_add_f64 v[0:1], v[126:127], v[0:1]
	v_mul_f64 v[126:127], v[212:213], s[18:19]
	v_fma_f64 v[130:131], s[0:1], v[148:149], v[128:129]
	v_add_f64 v[134:135], v[134:135], v[138:139]
	v_mul_f64 v[250:251], v[232:233], s[44:45]
	v_fma_f64 v[8:9], v[202:203], s[36:37], -v[254:255]
	v_add_f64 v[12:13], v[48:49], v[12:13]
	v_add_f64 v[116:117], v[122:123], v[0:1]
	v_mul_f64 v[124:125], v[210:211], s[38:39]
	v_fma_f64 v[122:123], s[12:13], v[146:147], v[126:127]
	v_add_f64 v[130:131], v[130:131], v[134:135]
	v_mul_f64 v[246:247], v[230:231], s[30:31]
	v_fma_f64 v[252:253], v[200:201], s[20:21], -v[250:251]
	v_add_f64 v[8:9], v[8:9], v[12:13]
	v_mul_f64 v[4:5], v[208:209], s[52:53]
	v_fma_f64 v[120:121], s[28:29], v[144:145], v[124:125]
	v_add_f64 v[122:123], v[122:123], v[130:131]
	v_mul_f64 v[242:243], v[228:229], s[18:19]
	v_fma_f64 v[248:249], v[166:167], s[0:1], -v[246:247]
	;; [unrolled: 6-line block ×3, first 2 shown]
	v_add_f64 v[8:9], v[248:249], v[8:9]
	v_fma_f64 v[2:3], s[8:9], v[140:141], v[0:1]
	v_add_f64 v[6:7], v[6:7], v[120:121]
	v_mul_f64 v[130:131], v[224:225], s[52:53]
	v_fma_f64 v[138:139], v[162:163], s[28:29], -v[134:135]
	v_add_f64 v[8:9], v[244:245], v[8:9]
	v_add_f64 v[122:123], v[2:3], v[6:7]
	v_mul_f64 v[2:3], v[222:223], s[46:47]
	v_fma_f64 v[120:121], v[158:159], s[24:25], -v[130:131]
	v_add_f64 v[8:9], v[138:139], v[8:9]
	v_fma_f64 v[6:7], v[156:157], s[8:9], -v[2:3]
	v_add_f64 v[8:9], v[120:121], v[8:9]
	v_add_f64 v[120:121], v[6:7], v[8:9]
	v_fma_f64 v[8:9], v[146:147], s[12:13], -v[126:127]
	v_fma_f64 v[126:127], v[154:155], s[16:17], -v[240:241]
	;; [unrolled: 1-line block ×4, first 2 shown]
	v_add_f64 v[126:127], v[50:51], v[126:127]
	v_fma_f64 v[14:15], v[150:151], s[20:21], -v[132:133]
	v_add_f64 v[124:125], v[124:125], v[126:127]
	v_fma_f64 v[12:13], v[148:149], s[0:1], -v[128:129]
	v_add_f64 v[14:15], v[14:15], v[124:125]
	v_add_f64 v[12:13], v[12:13], v[14:15]
	v_add_f64 v[8:9], v[8:9], v[12:13]
	v_fma_f64 v[4:5], v[142:143], s[24:25], -v[4:5]
	v_add_f64 v[6:7], v[6:7], v[8:9]
	v_fma_f64 v[0:1], v[140:141], s[8:9], -v[0:1]
	v_add_f64 v[4:5], v[4:5], v[6:7]
	v_fmac_f64_e32 v[10:11], s[16:17], v[204:205]
	v_add_f64 v[126:127], v[0:1], v[4:5]
	v_fmac_f64_e32 v[254:255], s[36:37], v[202:203]
	;; [unrolled: 2-line block ×5, first 2 shown]
	v_add_f64 v[0:1], v[246:247], v[0:1]
	v_mul_f64 v[240:241], v[220:221], s[18:19]
	v_accvgpr_write_b32 a74, v168
	v_fmac_f64_e32 v[134:135], s[28:29], v[162:163]
	v_add_f64 v[0:1], v[242:243], v[0:1]
	v_mul_f64 v[136:137], v[218:219], s[34:35]
	v_fma_f64 v[242:243], s[12:13], v[154:155], v[240:241]
	v_accvgpr_write_b32 a75, v169
	v_accvgpr_write_b32 a76, v170
	;; [unrolled: 1-line block ×3, first 2 shown]
	v_mov_b64_e32 v[170:171], v[18:19]
	v_accvgpr_write_b32 a78, v172
	v_fmac_f64_e32 v[130:131], s[24:25], v[158:159]
	v_add_f64 v[0:1], v[134:135], v[0:1]
	v_mul_f64 v[134:135], v[216:217], s[50:51]
	v_fma_f64 v[138:139], s[24:25], v[152:153], v[136:137]
	v_add_f64 v[242:243], v[50:51], v[242:243]
	v_mov_b64_e32 v[168:169], v[16:17]
	v_mul_f64 v[18:19], v[236:237], s[18:19]
	v_accvgpr_write_b32 a79, v173
	v_accvgpr_write_b32 a80, v174
	;; [unrolled: 1-line block ×3, first 2 shown]
	v_mov_b64_e32 v[174:175], v[22:23]
	v_add_f64 v[0:1], v[130:131], v[0:1]
	v_mul_f64 v[132:133], v[214:215], s[44:45]
	v_fma_f64 v[130:131], s[36:37], v[150:151], v[134:135]
	v_add_f64 v[138:139], v[138:139], v[242:243]
	v_mul_f64 v[254:255], v[234:235], s[34:35]
	v_mov_b64_e32 v[172:173], v[20:21]
	v_fma_f64 v[20:21], v[204:205], s[12:13], -v[18:19]
	v_mul_f64 v[12:13], v[212:213], s[46:47]
	v_fma_f64 v[128:129], s[20:21], v[148:149], v[132:133]
	v_add_f64 v[130:131], v[130:131], v[138:139]
	v_mul_f64 v[250:251], v[232:233], s[50:51]
	v_fma_f64 v[16:17], v[202:203], s[24:25], -v[254:255]
	v_add_f64 v[20:21], v[48:49], v[20:21]
	v_mul_f64 v[8:9], v[210:211], s[10:11]
	v_fma_f64 v[14:15], s[8:9], v[146:147], v[12:13]
	v_add_f64 v[128:129], v[128:129], v[130:131]
	v_mul_f64 v[246:247], v[230:231], s[44:45]
	v_fma_f64 v[252:253], v[200:201], s[36:37], -v[250:251]
	v_add_f64 v[16:17], v[16:17], v[20:21]
	v_fmac_f64_e32 v[2:3], s[8:9], v[156:157]
	v_mul_f64 v[4:5], v[208:209], s[22:23]
	v_fma_f64 v[10:11], s[0:1], v[144:145], v[8:9]
	v_add_f64 v[14:15], v[14:15], v[128:129]
	v_mul_f64 v[244:245], v[228:229], s[46:47]
	v_fma_f64 v[248:249], v[166:167], s[20:21], -v[246:247]
	v_add_f64 v[16:17], v[252:253], v[16:17]
	v_add_f64 v[124:125], v[2:3], v[0:1]
	v_mul_f64 v[0:1], v[206:207], s[38:39]
	v_fma_f64 v[6:7], s[16:17], v[142:143], v[4:5]
	v_add_f64 v[10:11], v[10:11], v[14:15]
	v_mul_f64 v[242:243], v[226:227], s[10:11]
	v_fma_f64 v[138:139], v[164:165], s[8:9], -v[244:245]
	v_add_f64 v[16:17], v[248:249], v[16:17]
	v_fma_f64 v[2:3], s[28:29], v[140:141], v[0:1]
	v_add_f64 v[6:7], v[6:7], v[10:11]
	v_mul_f64 v[10:11], v[224:225], s[22:23]
	v_fma_f64 v[128:129], v[162:163], s[0:1], -v[242:243]
	v_add_f64 v[16:17], v[138:139], v[16:17]
	v_add_f64 v[130:131], v[2:3], v[6:7]
	v_mul_f64 v[2:3], v[222:223], s[38:39]
	v_fma_f64 v[14:15], v[158:159], s[16:17], -v[10:11]
	v_add_f64 v[16:17], v[128:129], v[16:17]
	v_fma_f64 v[20:21], v[154:155], s[12:13], -v[240:241]
	v_fma_f64 v[6:7], v[156:157], s[28:29], -v[2:3]
	v_add_f64 v[14:15], v[14:15], v[16:17]
	v_fma_f64 v[16:17], v[152:153], s[24:25], -v[136:137]
	v_add_f64 v[20:21], v[50:51], v[20:21]
	v_add_f64 v[128:129], v[6:7], v[14:15]
	v_fma_f64 v[14:15], v[150:151], s[36:37], -v[134:135]
	v_add_f64 v[16:17], v[16:17], v[20:21]
	v_fma_f64 v[6:7], v[144:145], s[0:1], -v[8:9]
	v_fma_f64 v[8:9], v[146:147], s[8:9], -v[12:13]
	v_fma_f64 v[12:13], v[148:149], s[20:21], -v[132:133]
	v_add_f64 v[14:15], v[14:15], v[16:17]
	v_add_f64 v[12:13], v[12:13], v[14:15]
	;; [unrolled: 1-line block ×3, first 2 shown]
	v_fma_f64 v[4:5], v[142:143], s[16:17], -v[4:5]
	v_add_f64 v[6:7], v[6:7], v[8:9]
	v_fma_f64 v[0:1], v[140:141], s[28:29], -v[0:1]
	v_add_f64 v[4:5], v[4:5], v[6:7]
	v_fmac_f64_e32 v[18:19], s[12:13], v[204:205]
	v_add_f64 v[138:139], v[0:1], v[4:5]
	v_fmac_f64_e32 v[254:255], s[24:25], v[202:203]
	;; [unrolled: 2-line block ×6, first 2 shown]
	v_add_f64 v[0:1], v[244:245], v[0:1]
	v_add_f64 v[0:1], v[242:243], v[0:1]
	v_mul_f64 v[242:243], v[220:221], s[14:15]
	v_mul_f64 v[240:241], v[218:219], s[22:23]
	v_fma_f64 v[134:135], s[8:9], v[154:155], v[242:243]
	v_mul_f64 v[20:21], v[216:217], s[34:35]
	v_fma_f64 v[132:133], s[16:17], v[152:153], v[240:241]
	v_add_f64 v[134:135], v[50:51], v[134:135]
	v_mul_f64 v[24:25], v[236:237], s[14:15]
	v_mul_f64 v[16:17], v[214:215], s[42:43]
	v_fma_f64 v[22:23], s[24:25], v[150:151], v[20:21]
	v_add_f64 v[132:133], v[132:133], v[134:135]
	v_mul_f64 v[254:255], v[234:235], s[22:23]
	v_fma_f64 v[26:27], v[204:205], s[8:9], -v[24:25]
	v_mul_f64 v[12:13], v[212:213], s[48:49]
	v_fma_f64 v[18:19], s[36:37], v[148:149], v[16:17]
	v_add_f64 v[22:23], v[22:23], v[132:133]
	v_mul_f64 v[250:251], v[232:233], s[34:35]
	v_mov_b32_e32 v161, v239
	v_fma_f64 v[238:239], v[202:203], s[16:17], -v[254:255]
	v_add_f64 v[26:27], v[48:49], v[26:27]
	v_fmac_f64_e32 v[10:11], s[16:17], v[158:159]
	v_mul_f64 v[8:9], v[210:211], s[44:45]
	v_fma_f64 v[14:15], s[28:29], v[146:147], v[12:13]
	v_add_f64 v[18:19], v[18:19], v[22:23]
	v_mul_f64 v[246:247], v[230:231], s[42:43]
	v_fma_f64 v[252:253], v[200:201], s[24:25], -v[250:251]
	v_add_f64 v[26:27], v[238:239], v[26:27]
	v_fmac_f64_e32 v[2:3], s[28:29], v[156:157]
	v_add_f64 v[0:1], v[10:11], v[0:1]
	v_mul_f64 v[4:5], v[208:209], s[40:41]
	v_fma_f64 v[10:11], s[20:21], v[144:145], v[8:9]
	v_add_f64 v[14:15], v[14:15], v[18:19]
	v_mul_f64 v[244:245], v[228:229], s[48:49]
	v_fma_f64 v[248:249], v[166:167], s[36:37], -v[246:247]
	v_add_f64 v[26:27], v[252:253], v[26:27]
	v_add_f64 v[136:137], v[2:3], v[0:1]
	v_mul_f64 v[0:1], v[206:207], s[30:31]
	v_fma_f64 v[6:7], s[12:13], v[142:143], v[4:5]
	v_add_f64 v[10:11], v[10:11], v[14:15]
	v_mul_f64 v[18:19], v[226:227], s[44:45]
	v_fma_f64 v[132:133], v[164:165], s[28:29], -v[244:245]
	v_add_f64 v[26:27], v[248:249], v[26:27]
	v_fma_f64 v[2:3], s[0:1], v[140:141], v[0:1]
	v_add_f64 v[6:7], v[6:7], v[10:11]
	v_mul_f64 v[10:11], v[224:225], s[40:41]
	v_fma_f64 v[22:23], v[162:163], s[20:21], -v[18:19]
	v_add_f64 v[26:27], v[132:133], v[26:27]
	v_add_f64 v[134:135], v[2:3], v[6:7]
	v_mul_f64 v[2:3], v[222:223], s[30:31]
	v_fma_f64 v[14:15], v[158:159], s[12:13], -v[10:11]
	v_add_f64 v[22:23], v[22:23], v[26:27]
	v_fma_f64 v[6:7], v[156:157], s[0:1], -v[2:3]
	v_add_f64 v[14:15], v[14:15], v[22:23]
	v_add_f64 v[132:133], v[6:7], v[14:15]
	v_fma_f64 v[14:15], v[150:151], s[24:25], -v[20:21]
	v_fma_f64 v[20:21], v[154:155], s[8:9], -v[242:243]
	v_fma_f64 v[6:7], v[144:145], s[20:21], -v[8:9]
	v_fma_f64 v[8:9], v[146:147], s[28:29], -v[12:13]
	v_fma_f64 v[12:13], v[148:149], s[36:37], -v[16:17]
	v_fma_f64 v[16:17], v[152:153], s[16:17], -v[240:241]
	v_add_f64 v[20:21], v[50:51], v[20:21]
	v_add_f64 v[16:17], v[16:17], v[20:21]
	;; [unrolled: 1-line block ×5, first 2 shown]
	v_fma_f64 v[4:5], v[142:143], s[12:13], -v[4:5]
	v_add_f64 v[6:7], v[6:7], v[8:9]
	v_fma_f64 v[0:1], v[140:141], s[0:1], -v[0:1]
	v_add_f64 v[4:5], v[4:5], v[6:7]
	v_fmac_f64_e32 v[24:25], s[8:9], v[204:205]
	v_add_f64 v[242:243], v[0:1], v[4:5]
	v_fmac_f64_e32 v[254:255], s[16:17], v[202:203]
	;; [unrolled: 2-line block ×8, first 2 shown]
	v_add_f64 v[0:1], v[10:11], v[0:1]
	v_mul_f64 v[8:9], v[210:211], s[34:35]
	v_mul_f64 v[210:211], v[220:221], s[10:11]
	v_add_f64 v[240:241], v[2:3], v[0:1]
	v_mul_f64 v[0:1], v[206:207], s[42:43]
	v_mul_f64 v[24:25], v[218:219], s[14:15]
	v_fma_f64 v[206:207], s[0:1], v[154:155], v[210:211]
	v_mul_f64 v[20:21], v[216:217], s[18:19]
	v_fma_f64 v[26:27], s[8:9], v[152:153], v[24:25]
	v_add_f64 v[206:207], v[50:51], v[206:207]
	v_mul_f64 v[16:17], v[214:215], s[22:23]
	v_fma_f64 v[22:23], s[12:13], v[150:151], v[20:21]
	v_add_f64 v[26:27], v[26:27], v[206:207]
	;; [unrolled: 3-line block ×3, first 2 shown]
	v_fma_f64 v[14:15], s[20:21], v[146:147], v[12:13]
	v_add_f64 v[18:19], v[18:19], v[22:23]
	v_mul_f64 v[4:5], v[208:209], s[38:39]
	v_fma_f64 v[10:11], s[24:25], v[144:145], v[8:9]
	v_add_f64 v[14:15], v[14:15], v[18:19]
	v_fma_f64 v[6:7], s[28:29], v[142:143], v[4:5]
	v_add_f64 v[10:11], v[10:11], v[14:15]
	v_add_f64 v[6:7], v[6:7], v[10:11]
	v_mul_f64 v[10:11], v[224:225], s[38:39]
	v_mul_f64 v[224:225], v[236:237], s[10:11]
	v_fma_f64 v[2:3], s[36:37], v[140:141], v[0:1]
	v_mul_f64 v[18:19], v[226:227], s[34:35]
	v_mul_f64 v[220:221], v[234:235], s[14:15]
	v_fma_f64 v[226:227], v[204:205], s[0:1], -v[224:225]
	v_add_f64 v[208:209], v[2:3], v[6:7]
	v_mul_f64 v[2:3], v[222:223], s[42:43]
	v_mul_f64 v[216:217], v[232:233], s[18:19]
	v_fma_f64 v[222:223], v[202:203], s[8:9], -v[220:221]
	v_add_f64 v[226:227], v[48:49], v[226:227]
	v_mul_f64 v[212:213], v[230:231], s[22:23]
	v_fma_f64 v[218:219], v[200:201], s[12:13], -v[216:217]
	v_add_f64 v[222:223], v[222:223], v[226:227]
	;; [unrolled: 3-line block ×3, first 2 shown]
	v_fma_f64 v[206:207], v[164:165], s[20:21], -v[26:27]
	v_add_f64 v[214:215], v[214:215], v[218:219]
	v_fma_f64 v[22:23], v[162:163], s[24:25], -v[18:19]
	v_add_f64 v[206:207], v[206:207], v[214:215]
	;; [unrolled: 2-line block ×4, first 2 shown]
	v_add_f64 v[206:207], v[6:7], v[14:15]
	v_fma_f64 v[14:15], v[150:151], s[12:13], -v[20:21]
	v_fma_f64 v[20:21], v[154:155], s[0:1], -v[210:211]
	;; [unrolled: 1-line block ×6, first 2 shown]
	v_add_f64 v[20:21], v[50:51], v[20:21]
	v_add_f64 v[16:17], v[16:17], v[20:21]
	;; [unrolled: 1-line block ×5, first 2 shown]
	v_fma_f64 v[4:5], v[142:143], s[28:29], -v[4:5]
	v_add_f64 v[6:7], v[6:7], v[8:9]
	v_fma_f64 v[0:1], v[140:141], s[36:37], -v[0:1]
	v_add_f64 v[4:5], v[4:5], v[6:7]
	v_fmac_f64_e32 v[224:225], s[0:1], v[204:205]
	v_add_f64 v[142:143], v[0:1], v[4:5]
	v_fmac_f64_e32 v[220:221], s[8:9], v[202:203]
	;; [unrolled: 2-line block ×8, first 2 shown]
	v_add_f64 v[0:1], v[10:11], v[0:1]
	v_add_f64 v[140:141], v[2:3], v[0:1]
	;; [unrolled: 1-line block ×34, first 2 shown]
	scratch_load_dword v0, off, off offset:100 ; 4-byte Folded Reload
	v_accvgpr_read_b32 v171, a77
	v_accvgpr_read_b32 v175, a81
	;; [unrolled: 1-line block ×6, first 2 shown]
	v_mov_b32_e32 v239, v161
	v_accvgpr_read_b32 v238, a2
	v_accvgpr_read_b32 v170, a76
	;; [unrolled: 1-line block ×19, first 2 shown]
	s_waitcnt vmcnt(0)
	v_lshlrev_b32_e32 v0, 4, v0
	ds_write_b128 v0, v[48:51]
	ds_write_b128 v0, v[140:143] offset:16
	ds_write_b128 v0, v[240:243] offset:32
	;; [unrolled: 1-line block ×16, first 2 shown]
.LBB0_13:
	s_or_b64 exec, exec, s[56:57]
	s_waitcnt lgkmcnt(0)
	; wave barrier
	s_waitcnt lgkmcnt(0)
	ds_read_b128 v[52:55], v160 offset:7344
	ds_read_b128 v[48:51], v160 offset:6528
	v_accvgpr_read_b32 v2, a106
	v_accvgpr_read_b32 v4, a108
	v_accvgpr_read_b32 v5, a109
	v_accvgpr_read_b32 v3, a107
	s_waitcnt lgkmcnt(1)
	v_mul_f64 v[152:153], v[4:5], v[54:55]
	v_mul_f64 v[0:1], v[4:5], v[52:53]
	v_fmac_f64_e32 v[152:153], v[2:3], v[52:53]
	v_fma_f64 v[154:155], v[2:3], v[54:55], -v[0:1]
	ds_read_b128 v[52:55], v160 offset:14688
	ds_read_b128 v[56:59], v160 offset:15504
	v_accvgpr_read_b32 v2, a102
	v_accvgpr_read_b32 v4, a104
	v_accvgpr_read_b32 v5, a105
	v_accvgpr_read_b32 v3, a103
	s_waitcnt lgkmcnt(1)
	v_mul_f64 v[156:157], v[4:5], v[54:55]
	v_mul_f64 v[0:1], v[4:5], v[52:53]
	v_fmac_f64_e32 v[156:157], v[2:3], v[52:53]
	v_fma_f64 v[158:159], v[2:3], v[54:55], -v[0:1]
	;; [unrolled: 11-line block ×3, first 2 shown]
	v_accvgpr_read_b32 v2, a110
	v_accvgpr_read_b32 v4, a112
	v_accvgpr_read_b32 v5, a113
	v_accvgpr_read_b32 v3, a111
	v_mul_f64 v[148:149], v[4:5], v[58:59]
	v_mul_f64 v[0:1], v[4:5], v[56:57]
	v_fmac_f64_e32 v[148:149], v[2:3], v[56:57]
	v_fma_f64 v[150:151], v[2:3], v[58:59], -v[0:1]
	v_accvgpr_read_b32 v2, a122
	v_accvgpr_read_b32 v4, a124
	v_accvgpr_read_b32 v5, a125
	ds_read_b128 v[52:55], v160 offset:16320
	ds_read_b128 v[56:59], v160 offset:17136
	v_accvgpr_read_b32 v3, a123
	s_waitcnt lgkmcnt(2)
	v_mul_f64 v[136:137], v[4:5], v[62:63]
	v_mul_f64 v[0:1], v[4:5], v[60:61]
	v_fmac_f64_e32 v[136:137], v[2:3], v[60:61]
	v_fma_f64 v[138:139], v[2:3], v[62:63], -v[0:1]
	v_accvgpr_read_b32 v2, a118
	v_accvgpr_read_b32 v4, a120
	v_accvgpr_read_b32 v5, a121
	v_accvgpr_read_b32 v3, a119
	s_waitcnt lgkmcnt(1)
	v_mul_f64 v[140:141], v[4:5], v[54:55]
	v_mul_f64 v[0:1], v[4:5], v[52:53]
	v_fmac_f64_e32 v[140:141], v[2:3], v[52:53]
	v_fma_f64 v[142:143], v[2:3], v[54:55], -v[0:1]
	ds_read_b128 v[52:55], v160 offset:9792
	ds_read_b128 v[60:63], v160 offset:10608
	v_accvgpr_read_b32 v2, a130
	v_accvgpr_read_b32 v4, a132
	v_accvgpr_read_b32 v5, a133
	v_accvgpr_read_b32 v3, a131
	s_waitcnt lgkmcnt(1)
	v_mul_f64 v[128:129], v[4:5], v[54:55]
	v_mul_f64 v[0:1], v[4:5], v[52:53]
	v_fmac_f64_e32 v[128:129], v[2:3], v[52:53]
	v_fma_f64 v[130:131], v[2:3], v[54:55], -v[0:1]
	v_accvgpr_read_b32 v2, a126
	v_accvgpr_read_b32 v4, a128
	v_accvgpr_read_b32 v5, a129
	v_accvgpr_read_b32 v3, a127
	v_mul_f64 v[132:133], v[4:5], v[58:59]
	v_mul_f64 v[0:1], v[4:5], v[56:57]
	v_fmac_f64_e32 v[132:133], v[2:3], v[56:57]
	v_fma_f64 v[134:135], v[2:3], v[58:59], -v[0:1]
	v_accvgpr_read_b32 v2, a138
	v_accvgpr_read_b32 v4, a140
	v_accvgpr_read_b32 v5, a141
	ds_read_b128 v[52:55], v160 offset:17952
	ds_read_b128 v[56:59], v160 offset:18768
	v_accvgpr_read_b32 v3, a139
	s_waitcnt lgkmcnt(2)
	v_mul_f64 v[120:121], v[4:5], v[62:63]
	v_mul_f64 v[0:1], v[4:5], v[60:61]
	v_fmac_f64_e32 v[120:121], v[2:3], v[60:61]
	v_fma_f64 v[122:123], v[2:3], v[62:63], -v[0:1]
	v_accvgpr_read_b32 v2, a134
	v_accvgpr_read_b32 v4, a136
	v_accvgpr_read_b32 v5, a137
	v_accvgpr_read_b32 v3, a135
	s_waitcnt lgkmcnt(1)
	v_mul_f64 v[124:125], v[4:5], v[54:55]
	v_mul_f64 v[0:1], v[4:5], v[52:53]
	v_fmac_f64_e32 v[124:125], v[2:3], v[52:53]
	v_fma_f64 v[126:127], v[2:3], v[54:55], -v[0:1]
	ds_read_b128 v[52:55], v160 offset:11424
	ds_read_b128 v[60:63], v160 offset:12240
	v_accvgpr_read_b32 v2, a146
	v_accvgpr_read_b32 v4, a148
	v_accvgpr_read_b32 v5, a149
	v_accvgpr_read_b32 v3, a147
	s_waitcnt lgkmcnt(1)
	v_mul_f64 v[112:113], v[4:5], v[54:55]
	v_mul_f64 v[0:1], v[4:5], v[52:53]
	v_fmac_f64_e32 v[112:113], v[2:3], v[52:53]
	v_fma_f64 v[114:115], v[2:3], v[54:55], -v[0:1]
	;; [unrolled: 39-line block ×3, first 2 shown]
	v_accvgpr_read_b32 v2, a158
	v_accvgpr_read_b32 v4, a160
	;; [unrolled: 1-line block ×4, first 2 shown]
	v_mul_f64 v[104:105], v[4:5], v[58:59]
	v_mul_f64 v[0:1], v[4:5], v[56:57]
	v_fmac_f64_e32 v[104:105], v[2:3], v[56:57]
	v_fma_f64 v[110:111], v[2:3], v[58:59], -v[0:1]
	v_accvgpr_read_b32 v2, a170
	ds_read_b128 v[52:55], v160 offset:21216
	v_accvgpr_read_b32 v4, a172
	v_accvgpr_read_b32 v5, a173
	;; [unrolled: 1-line block ×3, first 2 shown]
	s_waitcnt lgkmcnt(1)
	v_mul_f64 v[90:91], v[4:5], v[62:63]
	v_mul_f64 v[0:1], v[4:5], v[60:61]
	ds_read_b128 v[80:83], v160
	ds_read_b128 v[76:79], v160 offset:816
	v_fmac_f64_e32 v[90:91], v[2:3], v[60:61]
	v_fma_f64 v[96:97], v[2:3], v[62:63], -v[0:1]
	v_accvgpr_read_b32 v2, a166
	v_accvgpr_read_b32 v4, a168
	;; [unrolled: 1-line block ×4, first 2 shown]
	s_waitcnt lgkmcnt(2)
	v_mul_f64 v[0:1], v[4:5], v[52:53]
	v_fma_f64 v[106:107], v[2:3], v[54:55], -v[0:1]
	s_waitcnt lgkmcnt(1)
	v_add_f64 v[0:1], v[80:81], v[152:153]
	v_mul_f64 v[98:99], v[4:5], v[54:55]
	v_add_f64 v[84:85], v[0:1], v[156:157]
	v_add_f64 v[0:1], v[82:83], v[154:155]
	v_fmac_f64_e32 v[98:99], v[2:3], v[52:53]
	v_add_f64 v[86:87], v[0:1], v[158:159]
	v_add_f64 v[0:1], v[152:153], v[156:157]
	;; [unrolled: 1-line block ×3, first 2 shown]
	s_mov_b32 s0, 0xe8584caa
	v_accvgpr_read_b32 v4, a180
	v_fmac_f64_e32 v[80:81], -0.5, v[0:1]
	v_add_f64 v[0:1], v[154:155], -v[158:159]
	v_fmac_f64_e32 v[82:83], -0.5, v[2:3]
	v_add_f64 v[2:3], v[152:153], -v[156:157]
	s_mov_b32 s1, 0xbfebb67a
	s_mov_b32 s9, 0x3febb67a
	;; [unrolled: 1-line block ×3, first 2 shown]
	ds_read_b128 v[72:75], v160 offset:1632
	ds_read_b128 v[68:71], v160 offset:2448
	;; [unrolled: 1-line block ×6, first 2 shown]
	s_waitcnt lgkmcnt(0)
	; wave barrier
	s_waitcnt lgkmcnt(0)
	ds_write_b128 v4, v[84:87]
	v_fma_f64 v[84:85], s[0:1], v[0:1], v[80:81]
	v_fma_f64 v[86:87], s[8:9], v[2:3], v[82:83]
	v_fmac_f64_e32 v[80:81], s[8:9], v[0:1]
	v_fmac_f64_e32 v[82:83], s[0:1], v[2:3]
	v_add_f64 v[0:1], v[76:77], v[144:145]
	ds_write_b128 v4, v[80:83] offset:544
	v_add_f64 v[80:81], v[0:1], v[148:149]
	v_add_f64 v[0:1], v[78:79], v[146:147]
	v_add_f64 v[82:83], v[0:1], v[150:151]
	v_add_f64 v[0:1], v[144:145], v[148:149]
	v_add_f64 v[2:3], v[146:147], v[150:151]
	ds_write_b128 v4, v[84:87] offset:272
	v_accvgpr_read_b32 v4, a179
	v_fmac_f64_e32 v[76:77], -0.5, v[0:1]
	v_add_f64 v[0:1], v[146:147], -v[150:151]
	v_fmac_f64_e32 v[78:79], -0.5, v[2:3]
	v_add_f64 v[2:3], v[144:145], -v[148:149]
	ds_write_b128 v4, v[80:83]
	v_fma_f64 v[80:81], s[0:1], v[0:1], v[76:77]
	v_fma_f64 v[82:83], s[8:9], v[2:3], v[78:79]
	v_fmac_f64_e32 v[76:77], s[8:9], v[0:1]
	v_fmac_f64_e32 v[78:79], s[0:1], v[2:3]
	v_add_f64 v[0:1], v[72:73], v[136:137]
	ds_write_b128 v4, v[76:79] offset:544
	v_add_f64 v[76:77], v[0:1], v[140:141]
	v_add_f64 v[0:1], v[74:75], v[138:139]
	v_add_f64 v[78:79], v[0:1], v[142:143]
	v_add_f64 v[0:1], v[136:137], v[140:141]
	v_add_f64 v[2:3], v[138:139], v[142:143]
	ds_write_b128 v4, v[80:83] offset:272
	v_accvgpr_read_b32 v4, a178
	v_fmac_f64_e32 v[72:73], -0.5, v[0:1]
	v_add_f64 v[0:1], v[138:139], -v[142:143]
	v_fmac_f64_e32 v[74:75], -0.5, v[2:3]
	v_add_f64 v[2:3], v[136:137], -v[140:141]
	;; [unrolled: 18-line block ×5, first 2 shown]
	ds_write_b128 v4, v[64:67]
	v_fma_f64 v[64:65], s[0:1], v[0:1], v[60:61]
	v_fma_f64 v[66:67], s[8:9], v[2:3], v[62:63]
	v_fmac_f64_e32 v[60:61], s[8:9], v[0:1]
	v_add_f64 v[0:1], v[56:57], v[88:89]
	ds_write_b128 v4, v[64:67] offset:272
	v_add_f64 v[64:65], v[0:1], v[100:101]
	v_add_f64 v[0:1], v[58:59], v[94:95]
	;; [unrolled: 1-line block ×4, first 2 shown]
	v_fmac_f64_e32 v[62:63], s[0:1], v[2:3]
	v_fmac_f64_e32 v[58:59], -0.5, v[0:1]
	v_add_f64 v[0:1], v[88:89], -v[100:101]
	ds_write_b128 v4, v[60:63] offset:544
	v_fma_f64 v[62:63], s[8:9], v[0:1], v[58:59]
	v_fmac_f64_e32 v[58:59], s[0:1], v[0:1]
	v_add_f64 v[0:1], v[52:53], v[92:93]
	v_add_f64 v[72:73], v[0:1], v[104:105]
	;; [unrolled: 1-line block ×5, first 2 shown]
	v_fmac_f64_e32 v[54:55], -0.5, v[0:1]
	v_add_f64 v[0:1], v[92:93], -v[104:105]
	v_fma_f64 v[70:71], s[8:9], v[0:1], v[54:55]
	v_fmac_f64_e32 v[54:55], s[0:1], v[0:1]
	v_add_f64 v[0:1], v[48:49], v[90:91]
	v_add_f64 v[2:3], v[88:89], v[100:101]
	v_add_f64 v[80:81], v[0:1], v[98:99]
	v_add_f64 v[0:1], v[50:51], v[96:97]
	v_fmac_f64_e32 v[56:57], -0.5, v[2:3]
	v_add_f64 v[2:3], v[94:95], -v[108:109]
	v_add_f64 v[82:83], v[0:1], v[106:107]
	v_add_f64 v[0:1], v[96:97], v[106:107]
	v_fma_f64 v[60:61], s[0:1], v[2:3], v[56:57]
	v_fmac_f64_e32 v[56:57], s[8:9], v[2:3]
	v_fmac_f64_e32 v[50:51], -0.5, v[0:1]
	v_add_f64 v[0:1], v[90:91], -v[98:99]
	ds_write_b128 v239, v[64:67]
	ds_write_b128 v239, v[60:63] offset:272
	ds_write_b128 v239, v[56:59] offset:544
	v_fma_f64 v[78:79], s[8:9], v[0:1], v[50:51]
	v_fmac_f64_e32 v[50:51], s[0:1], v[0:1]
	scratch_load_dword v0, off, off         ; 4-byte Folded Reload
	v_add_f64 v[2:3], v[92:93], v[104:105]
	v_fmac_f64_e32 v[52:53], -0.5, v[2:3]
	v_add_f64 v[2:3], v[102:103], -v[110:111]
	v_fma_f64 v[68:69], s[0:1], v[2:3], v[52:53]
	v_fmac_f64_e32 v[52:53], s[8:9], v[2:3]
	v_add_f64 v[2:3], v[90:91], v[98:99]
	v_fmac_f64_e32 v[48:49], -0.5, v[2:3]
	v_add_f64 v[2:3], v[96:97], -v[106:107]
	v_fma_f64 v[76:77], s[0:1], v[2:3], v[48:49]
	v_fmac_f64_e32 v[48:49], s[8:9], v[2:3]
	s_waitcnt vmcnt(0)
	ds_write_b128 v0, v[72:75]
	ds_write_b128 v0, v[68:71] offset:272
	ds_write_b128 v0, v[52:55] offset:544
	v_accvgpr_read_b32 v0, a254
	ds_write_b128 v0, v[80:83]
	ds_write_b128 v0, v[76:79] offset:272
	ds_write_b128 v0, v[48:51] offset:544
	s_waitcnt lgkmcnt(0)
	; wave barrier
	s_waitcnt lgkmcnt(0)
	ds_read_b128 v[56:59], v160 offset:4896
	ds_read_b128 v[52:55], v160 offset:5712
	;; [unrolled: 1-line block ×8, first 2 shown]
	s_waitcnt lgkmcnt(5)
	v_mul_f64 v[0:1], v[194:195], v[62:63]
	s_waitcnt lgkmcnt(3)
	v_mul_f64 v[4:5], v[194:195], v[64:65]
	v_mul_f64 v[2:3], v[194:195], v[60:61]
	v_fma_f64 v[146:147], v[192:193], v[66:67], -v[4:5]
	v_mul_f64 v[4:5], v[190:191], v[58:59]
	v_mul_f64 v[6:7], v[190:191], v[56:57]
	v_fmac_f64_e32 v[0:1], v[192:193], v[60:61]
	v_fma_f64 v[2:3], v[192:193], v[62:63], -v[2:3]
	v_mul_f64 v[144:145], v[194:195], v[66:67]
	ds_read_b128 v[60:63], v160 offset:8160
	ds_read_b128 v[80:83], v160 offset:8976
	v_fmac_f64_e32 v[4:5], v[188:189], v[56:57]
	v_fma_f64 v[6:7], v[188:189], v[58:59], -v[6:7]
	ds_read_b128 v[56:59], v160 offset:9792
	v_fmac_f64_e32 v[144:145], v[192:193], v[64:65]
	ds_read_b128 v[64:67], v160 offset:10608
	v_mul_f64 v[12:13], v[190:191], v[52:53]
	s_waitcnt lgkmcnt(5)
	v_mul_f64 v[8:9], v[186:187], v[74:75]
	v_mul_f64 v[10:11], v[186:187], v[72:73]
	v_fma_f64 v[150:151], v[188:189], v[54:55], -v[12:13]
	s_waitcnt lgkmcnt(3)
	v_mul_f64 v[164:165], v[186:187], v[62:63]
	v_mul_f64 v[12:13], v[186:187], v[60:61]
	v_fmac_f64_e32 v[8:9], v[184:185], v[72:73]
	v_fma_f64 v[10:11], v[184:185], v[74:75], -v[10:11]
	v_mul_f64 v[148:149], v[190:191], v[54:55]
	v_fmac_f64_e32 v[164:165], v[184:185], v[60:61]
	v_fma_f64 v[184:185], v[184:185], v[62:63], -v[12:13]
	s_waitcnt lgkmcnt(1)
	v_mul_f64 v[12:13], v[182:183], v[56:57]
	v_fmac_f64_e32 v[148:149], v[188:189], v[52:53]
	v_fma_f64 v[52:53], v[180:181], v[58:59], -v[12:13]
	s_waitcnt lgkmcnt(0)
	v_mul_f64 v[62:63], v[182:183], v[66:67]
	v_mul_f64 v[12:13], v[182:183], v[64:65]
	v_fmac_f64_e32 v[62:63], v[180:181], v[64:65]
	v_fma_f64 v[60:61], v[180:181], v[66:67], -v[12:13]
	ds_read_b128 v[64:67], v160 offset:12240
	ds_read_b128 v[84:87], v160 offset:11424
	;; [unrolled: 1-line block ×4, first 2 shown]
	v_mul_f64 v[54:55], v[182:183], v[58:59]
	v_fmac_f64_e32 v[54:55], v[180:181], v[56:57]
	s_waitcnt lgkmcnt(3)
	v_mul_f64 v[12:13], v[198:199], v[64:65]
	v_mul_f64 v[58:59], v[198:199], v[66:67]
	v_fma_f64 v[56:57], v[196:197], v[66:67], -v[12:13]
	s_waitcnt lgkmcnt(1)
	v_mul_f64 v[66:67], v[198:199], v[74:75]
	v_mul_f64 v[12:13], v[198:199], v[72:73]
	v_fmac_f64_e32 v[58:59], v[196:197], v[64:65]
	v_fmac_f64_e32 v[66:67], v[196:197], v[72:73]
	v_fma_f64 v[64:65], v[196:197], v[74:75], -v[12:13]
	ds_read_b128 v[72:75], v160 offset:14688
	ds_read_b128 v[92:95], v160 offset:15504
	v_accvgpr_read_b32 v26, a194
	v_accvgpr_read_b32 v28, a196
	;; [unrolled: 1-line block ×3, first 2 shown]
	s_waitcnt lgkmcnt(1)
	v_mul_f64 v[12:13], v[178:179], v[74:75]
	v_mul_f64 v[14:15], v[178:179], v[72:73]
	s_waitcnt lgkmcnt(0)
	v_mul_f64 v[182:183], v[178:179], v[94:95]
	v_mul_f64 v[16:17], v[178:179], v[92:93]
	v_fmac_f64_e32 v[12:13], v[176:177], v[72:73]
	v_fma_f64 v[14:15], v[176:177], v[74:75], -v[14:15]
	v_fmac_f64_e32 v[182:183], v[176:177], v[92:93]
	v_fma_f64 v[186:187], v[176:177], v[94:95], -v[16:17]
	ds_read_b128 v[72:75], v160 offset:17136
	ds_read_b128 v[92:95], v160 offset:16320
	v_accvgpr_read_b32 v27, a195
	v_mul_f64 v[122:123], v[28:29], v[70:71]
	v_fmac_f64_e32 v[122:123], v[26:27], v[68:69]
	s_waitcnt lgkmcnt(1)
	v_mul_f64 v[16:17], v[174:175], v[74:75]
	v_mul_f64 v[18:19], v[174:175], v[72:73]
	v_fmac_f64_e32 v[16:17], v[172:173], v[72:73]
	v_fma_f64 v[18:19], v[172:173], v[74:75], -v[18:19]
	ds_read_b128 v[72:75], v160 offset:17952
	ds_read_b128 v[96:99], v160 offset:18768
	v_add_f64 v[114:115], v[54:55], -v[58:59]
	v_add_f64 v[110:111], v[54:55], v[58:59]
	v_add_f64 v[118:119], v[52:53], -v[56:57]
	s_waitcnt lgkmcnt(1)
	v_mul_f64 v[158:159], v[174:175], v[74:75]
	v_mul_f64 v[20:21], v[174:175], v[72:73]
	v_fmac_f64_e32 v[158:159], v[172:173], v[72:73]
	v_fma_f64 v[162:163], v[172:173], v[74:75], -v[20:21]
	ds_read_b128 v[72:75], v160 offset:19584
	ds_read_b128 v[100:103], v160 offset:20400
	v_add_f64 v[116:117], v[52:53], v[56:57]
	s_mov_b32 s16, 0x8c811c17
	s_mov_b32 s22, 0x523c161c
	s_waitcnt lgkmcnt(1)
	v_mul_f64 v[20:21], v[170:171], v[74:75]
	v_mul_f64 v[22:23], v[170:171], v[72:73]
	s_waitcnt lgkmcnt(0)
	v_mul_f64 v[154:155], v[170:171], v[102:103]
	v_mul_f64 v[24:25], v[170:171], v[100:101]
	v_fmac_f64_e32 v[20:21], v[168:169], v[72:73]
	v_fma_f64 v[22:23], v[168:169], v[74:75], -v[22:23]
	v_fmac_f64_e32 v[154:155], v[168:169], v[100:101]
	v_fma_f64 v[168:169], v[168:169], v[102:103], -v[24:25]
	v_mul_f64 v[24:25], v[28:29], v[68:69]
	v_fma_f64 v[124:125], v[26:27], v[70:71], -v[24:25]
	v_accvgpr_read_b32 v26, a190
	v_accvgpr_read_b32 v28, a192
	v_accvgpr_read_b32 v29, a193
	v_accvgpr_read_b32 v27, a191
	v_mul_f64 v[126:127], v[28:29], v[78:79]
	v_mul_f64 v[24:25], v[28:29], v[76:77]
	v_fmac_f64_e32 v[126:127], v[26:27], v[76:77]
	v_fma_f64 v[130:131], v[26:27], v[78:79], -v[24:25]
	v_accvgpr_read_b32 v26, a186
	v_accvgpr_read_b32 v28, a188
	v_accvgpr_read_b32 v29, a189
	v_accvgpr_read_b32 v27, a187
	v_mul_f64 v[132:133], v[28:29], v[82:83]
	v_mul_f64 v[24:25], v[28:29], v[80:81]
	v_fmac_f64_e32 v[132:133], v[26:27], v[80:81]
	;; [unrolled: 8-line block ×5, first 2 shown]
	v_fma_f64 v[138:139], v[26:27], v[94:95], -v[24:25]
	v_accvgpr_read_b32 v26, a202
	v_accvgpr_read_b32 v28, a204
	;; [unrolled: 1-line block ×3, first 2 shown]
	ds_read_b128 v[68:71], v160 offset:21216
	v_accvgpr_read_b32 v27, a203
	v_mul_f64 v[140:141], v[28:29], v[98:99]
	v_mul_f64 v[24:25], v[28:29], v[96:97]
	v_fmac_f64_e32 v[140:141], v[26:27], v[96:97]
	v_fma_f64 v[142:143], v[26:27], v[98:99], -v[24:25]
	v_add_f64 v[88:89], v[0:1], v[20:21]
	v_add_f64 v[90:91], v[2:3], v[22:23]
	;; [unrolled: 1-line block ×4, first 2 shown]
	v_accvgpr_read_b32 v26, a198
	v_add_f64 v[100:101], v[8:9], v[12:13]
	v_add_f64 v[102:103], v[10:11], v[14:15]
	;; [unrolled: 1-line block ×4, first 2 shown]
	v_accvgpr_read_b32 v28, a200
	v_accvgpr_read_b32 v29, a201
	v_add_f64 v[84:85], v[0:1], -v[20:21]
	v_add_f64 v[86:87], v[2:3], -v[22:23]
	v_add_f64 v[0:1], v[100:101], v[108:109]
	v_add_f64 v[2:3], v[102:103], v[112:113]
	v_accvgpr_read_b32 v27, a199
	s_waitcnt lgkmcnt(0)
	v_mul_f64 v[174:175], v[28:29], v[70:71]
	v_mul_f64 v[24:25], v[28:29], v[68:69]
	v_add_f64 v[0:1], v[54:55], v[0:1]
	v_add_f64 v[2:3], v[52:53], v[2:3]
	v_fmac_f64_e32 v[174:175], v[26:27], v[68:69]
	v_fma_f64 v[176:177], v[26:27], v[70:71], -v[24:25]
	v_add_f64 v[0:1], v[58:59], v[0:1]
	v_add_f64 v[2:3], v[56:57], v[2:3]
	ds_read_b128 v[56:59], v160
	ds_read_b128 v[68:71], v160 offset:816
	s_mov_b32 s17, 0x3fef838b
	v_add_f64 v[92:93], v[4:5], -v[16:17]
	s_mov_b32 s23, 0x3fe491b7
	s_waitcnt lgkmcnt(1)
	v_add_f64 v[80:81], v[56:57], v[0:1]
	s_mov_b32 s21, 0xbfe491b7
	s_mov_b32 s20, s22
	v_mul_f64 v[0:1], v[114:115], s[16:17]
	v_add_f64 v[152:153], v[144:145], v[154:155]
	v_add_f64 v[144:145], v[144:145], -v[154:155]
	v_add_f64 v[154:155], v[148:149], v[158:159]
	v_add_f64 v[94:95], v[6:7], -v[18:19]
	v_fma_f64 v[120:121], v[92:93], s[20:21], -v[0:1]
	v_mul_f64 v[0:1], v[118:119], s[16:17]
	v_add_f64 v[156:157], v[146:147], v[168:169]
	v_add_f64 v[148:149], v[148:149], -v[158:159]
	v_add_f64 v[158:159], v[150:151], v[162:163]
	v_add_f64 v[150:151], v[150:151], -v[162:163]
	;; [unrolled: 2-line block ×3, first 2 shown]
	v_add_f64 v[182:183], v[154:155], v[152:153]
	v_fma_f64 v[128:129], v[94:95], s[20:21], -v[0:1]
	v_add_f64 v[146:147], v[146:147], -v[168:169]
	v_add_f64 v[164:165], v[184:185], v[186:187]
	v_add_f64 v[168:169], v[184:185], -v[186:187]
	v_add_f64 v[0:1], v[162:163], v[182:183]
	v_add_f64 v[186:187], v[158:159], v[156:157]
	;; [unrolled: 1-line block ×3, first 2 shown]
	s_mov_b32 s24, 0xa2cf5039
	v_add_f64 v[0:1], v[62:63], v[0:1]
	v_add_f64 v[2:3], v[164:165], v[186:187]
	s_mov_b32 s25, 0x3fe8836f
	s_mov_b32 s18, 0x7e0b738b
	v_add_f64 v[190:191], v[62:63], -v[66:67]
	v_add_f64 v[0:1], v[66:67], v[0:1]
	v_add_f64 v[2:3], v[60:61], v[2:3]
	s_mov_b32 s19, 0x3fc63a1a
	v_fma_f64 v[178:179], s[24:25], v[88:89], v[56:57]
	v_add_f64 v[196:197], v[60:61], -v[64:65]
	v_add_f64 v[192:193], v[60:61], v[64:65]
	v_add_f64 v[2:3], v[64:65], v[2:3]
	s_waitcnt lgkmcnt(0)
	v_add_f64 v[64:65], v[68:69], v[0:1]
	v_mul_f64 v[0:1], v[190:191], s[16:17]
	v_add_f64 v[206:207], v[122:123], v[174:175]
	v_add_f64 v[208:209], v[126:127], v[140:141]
	v_mul_f64 v[20:21], v[86:87], s[22:23]
	v_add_f64 v[104:105], v[10:11], -v[14:15]
	s_mov_b32 s10, 0xe8584cab
	s_mov_b32 s11, s9
	;; [unrolled: 1-line block ×4, first 2 shown]
	v_fma_f64 v[188:189], v[148:149], s[20:21], -v[0:1]
	v_mul_f64 v[0:1], v[196:197], s[16:17]
	v_add_f64 v[210:211], v[124:125], v[176:177]
	v_add_f64 v[212:213], v[130:131], v[142:143]
	;; [unrolled: 1-line block ×4, first 2 shown]
	v_fmac_f64_e32 v[20:21], s[16:17], v[94:95]
	v_fmac_f64_e32 v[178:179], s[18:19], v[96:97]
	s_mov_b32 s13, 0x3fd5e3a8
	s_mov_b32 s15, 0xbfee11f6
	v_fma_f64 v[180:181], s[24:25], v[90:91], v[58:59]
	v_fma_f64 v[194:195], v[150:151], s[20:21], -v[0:1]
	v_add_f64 v[218:219], v[132:133], -v[136:137]
	v_add_f64 v[132:133], v[134:135], v[138:139]
	v_add_f64 v[0:1], v[214:215], v[226:227]
	;; [unrolled: 1-line block ×3, first 2 shown]
	v_mul_f64 v[18:19], v[84:85], s[22:23]
	v_fmac_f64_e32 v[20:21], s[10:11], v[104:105]
	v_fmac_f64_e32 v[178:179], -0.5, v[100:101]
	v_add_f64 v[106:107], v[8:9], -v[12:13]
	v_add_f64 v[0:1], v[74:75], v[0:1]
	v_add_f64 v[8:9], v[132:133], v[6:7]
	v_fmac_f64_e32 v[18:19], s[16:17], v[92:93]
	v_fmac_f64_e32 v[20:21], s[12:13], v[118:119]
	;; [unrolled: 1-line block ×4, first 2 shown]
	v_add_f64 v[184:185], v[62:63], v[66:67]
	v_add_f64 v[66:67], v[70:71], v[2:3]
	v_add_f64 v[202:203], v[126:127], -v[140:141]
	v_add_f64 v[2:3], v[74:75], -v[78:79]
	v_add_f64 v[0:1], v[78:79], v[0:1]
	v_add_f64 v[8:9], v[72:73], v[8:9]
	v_fmac_f64_e32 v[18:19], s[10:11], v[106:107]
	v_fmac_f64_e32 v[180:181], -0.5, v[102:103]
	v_add_f64 v[140:141], v[178:179], -v[20:21]
	v_add_f64 v[10:11], v[72:73], -v[76:77]
	v_add_f64 v[12:13], v[72:73], v[76:77]
	v_add_f64 v[8:9], v[76:77], v[8:9]
	;; [unrolled: 1-line block ×3, first 2 shown]
	v_mul_f64 v[0:1], v[2:3], s[16:17]
	s_waitcnt lgkmcnt(0)
	; wave barrier
	ds_write_b128 v160, v[80:83]
	v_fmac_f64_e32 v[18:19], s[12:13], v[114:115]
	v_fmac_f64_e32 v[180:181], s[14:15], v[116:117]
	v_mov_b64_e32 v[80:81], v[140:141]
	v_fma_f64 v[166:167], s[24:25], v[110:111], v[56:57]
	v_add_f64 v[198:199], v[122:123], -v[174:175]
	v_add_f64 v[204:205], v[130:131], -v[142:143]
	v_add_f64 v[4:5], v[74:75], v[78:79]
	v_fma_f64 v[174:175], v[202:203], s[20:21], -v[0:1]
	v_mul_f64 v[0:1], v[10:11], s[16:17]
	v_add_f64 v[142:143], v[18:19], v[180:181]
	v_fmac_f64_e32 v[80:81], 2.0, v[20:21]
	v_mul_f64 v[20:21], v[118:119], s[20:21]
	v_add_f64 v[52:53], v[56:57], v[100:101]
	v_add_f64 v[54:55], v[58:59], v[102:103]
	v_fmac_f64_e32 v[56:57], s[24:25], v[96:97]
	v_fma_f64 v[172:173], s[24:25], v[116:117], v[58:59]
	v_fmac_f64_e32 v[58:59], s[24:25], v[98:99]
	v_add_f64 v[60:61], v[68:69], v[162:163]
	v_add_f64 v[62:63], v[70:71], v[164:165]
	v_fma_f64 v[222:223], s[24:25], v[152:153], v[68:69]
	v_fma_f64 v[216:217], s[24:25], v[184:185], v[68:69]
	v_fmac_f64_e32 v[68:69], s[24:25], v[154:155]
	v_fma_f64 v[224:225], s[24:25], v[156:157], v[70:71]
	v_fma_f64 v[220:221], s[24:25], v[192:193], v[70:71]
	v_fmac_f64_e32 v[70:71], s[24:25], v[158:159]
	v_add_f64 v[200:201], v[124:125], -v[176:177]
	v_add_f64 v[78:79], v[50:51], v[8:9]
	v_add_f64 v[72:73], v[48:49], v[214:215]
	;; [unrolled: 1-line block ×3, first 2 shown]
	v_fma_f64 v[176:177], v[204:205], s[20:21], -v[0:1]
	v_fma_f64 v[0:1], s[24:25], v[206:207], v[48:49]
	v_fma_f64 v[8:9], s[24:25], v[4:5], v[48:49]
	v_fmac_f64_e32 v[48:49], s[24:25], v[208:209]
	v_fma_f64 v[14:15], s[24:25], v[210:211], v[50:51]
	v_fma_f64 v[16:17], s[24:25], v[12:13], v[50:51]
	v_fmac_f64_e32 v[50:51], s[24:25], v[212:213]
	v_mov_b64_e32 v[82:83], v[142:143]
	s_mov_b32 s24, s10
	s_mov_b32 s25, s1
	v_fmac_f64_e32 v[20:21], s[16:17], v[86:87]
	v_fmac_f64_e32 v[166:167], s[18:19], v[88:89]
	v_fmac_f64_e32 v[82:83], -2.0, v[18:19]
	v_mul_f64 v[18:19], v[114:115], s[20:21]
	v_fmac_f64_e32 v[20:21], s[24:25], v[104:105]
	v_fmac_f64_e32 v[166:167], -0.5, v[100:101]
	v_fmac_f64_e32 v[56:57], s[18:19], v[110:111]
	v_fmac_f64_e32 v[18:19], s[16:17], v[84:85]
	;; [unrolled: 1-line block ×5, first 2 shown]
	v_fmac_f64_e32 v[56:57], -0.5, v[100:101]
	v_fmac_f64_e32 v[18:19], s[24:25], v[106:107]
	v_fmac_f64_e32 v[172:173], -0.5, v[102:103]
	v_add_f64 v[136:137], v[166:167], -v[20:21]
	v_fmac_f64_e32 v[58:59], s[18:19], v[116:117]
	v_fmac_f64_e32 v[56:57], s[14:15], v[88:89]
	v_fmac_f64_e32 v[172:173], s[14:15], v[98:99]
	v_fmac_f64_e32 v[18:19], s[12:13], v[92:93]
	v_mov_b64_e32 v[88:89], v[136:137]
	v_fmac_f64_e32 v[58:59], -0.5, v[102:103]
	v_add_f64 v[134:135], v[134:135], -v[138:139]
	v_add_f64 v[138:139], v[18:19], v[172:173]
	v_fmac_f64_e32 v[88:89], 2.0, v[20:21]
	v_add_f64 v[20:21], v[118:119], v[86:87]
	v_add_f64 v[22:23], v[110:111], v[108:109]
	v_fmac_f64_e32 v[58:59], s[14:15], v[90:91]
	v_mov_b64_e32 v[90:91], v[138:139]
	v_add_f64 v[20:21], v[20:21], -v[94:95]
	v_fmac_f64_e32 v[52:53], -0.5, v[22:23]
	v_fmac_f64_e32 v[90:91], -2.0, v[18:19]
	v_add_f64 v[18:19], v[114:115], v[84:85]
	v_add_f64 v[24:25], v[116:117], v[112:113]
	v_fmac_f64_e32 v[52:53], s[24:25], v[20:21]
	v_add_f64 v[18:19], v[18:19], -v[92:93]
	v_fmac_f64_e32 v[54:55], -0.5, v[24:25]
	v_mul_f64 v[20:21], v[20:21], s[10:11]
	v_mov_b64_e32 v[100:101], v[52:53]
	v_fmac_f64_e32 v[100:101], 2.0, v[20:21]
	v_fmac_f64_e32 v[54:55], s[10:11], v[18:19]
	v_mul_f64 v[20:21], v[146:147], s[22:23]
	v_mul_f64 v[18:19], v[18:19], s[10:11]
	v_mov_b64_e32 v[102:103], v[54:55]
	v_fmac_f64_e32 v[20:21], s[16:17], v[150:151]
	v_fmac_f64_e32 v[222:223], s[18:19], v[154:155]
	v_fmac_f64_e32 v[102:103], -2.0, v[18:19]
	v_mul_f64 v[18:19], v[144:145], s[22:23]
	v_fmac_f64_e32 v[20:21], s[10:11], v[168:169]
	v_fmac_f64_e32 v[222:223], -0.5, v[162:163]
	v_fmac_f64_e32 v[18:19], s[16:17], v[148:149]
	v_fmac_f64_e32 v[20:21], s[12:13], v[196:197]
	;; [unrolled: 1-line block ×7, first 2 shown]
	v_fmac_f64_e32 v[224:225], -0.5, v[164:165]
	v_add_f64 v[104:105], v[222:223], -v[20:21]
	v_fmac_f64_e32 v[120:121], s[12:13], v[84:85]
	v_fmac_f64_e32 v[18:19], s[12:13], v[190:191]
	v_fmac_f64_e32 v[224:225], s[14:15], v[192:193]
	v_mov_b64_e32 v[84:85], v[104:105]
	v_add_f64 v[106:107], v[18:19], v[224:225]
	v_fmac_f64_e32 v[84:85], 2.0, v[20:21]
	v_mul_f64 v[20:21], v[196:197], s[20:21]
	v_fmac_f64_e32 v[128:129], s[12:13], v[86:87]
	v_mov_b64_e32 v[86:87], v[106:107]
	v_fmac_f64_e32 v[20:21], s[16:17], v[146:147]
	v_fmac_f64_e32 v[216:217], s[18:19], v[152:153]
	v_fmac_f64_e32 v[86:87], -2.0, v[18:19]
	v_mul_f64 v[18:19], v[190:191], s[20:21]
	v_fmac_f64_e32 v[20:21], s[24:25], v[168:169]
	v_fmac_f64_e32 v[216:217], -0.5, v[162:163]
	v_fmac_f64_e32 v[18:19], s[16:17], v[144:145]
	v_fmac_f64_e32 v[220:221], s[18:19], v[156:157]
	;; [unrolled: 1-line block ×5, first 2 shown]
	v_fmac_f64_e32 v[220:221], -0.5, v[164:165]
	v_add_f64 v[124:125], v[216:217], -v[20:21]
	v_fmac_f64_e32 v[220:221], s[14:15], v[158:159]
	v_fmac_f64_e32 v[18:19], s[12:13], v[148:149]
	v_mov_b64_e32 v[96:97], v[124:125]
	v_add_f64 v[126:127], v[18:19], v[220:221]
	v_fmac_f64_e32 v[96:97], 2.0, v[20:21]
	v_add_f64 v[20:21], v[196:197], v[146:147]
	v_add_f64 v[22:23], v[184:185], v[182:183]
	v_mov_b64_e32 v[98:99], v[126:127]
	v_add_f64 v[20:21], v[20:21], -v[150:151]
	v_fmac_f64_e32 v[60:61], -0.5, v[22:23]
	v_fmac_f64_e32 v[98:99], -2.0, v[18:19]
	v_add_f64 v[18:19], v[190:191], v[144:145]
	v_add_f64 v[24:25], v[192:193], v[186:187]
	v_fmac_f64_e32 v[60:61], s[24:25], v[20:21]
	v_add_f64 v[18:19], v[18:19], -v[148:149]
	v_fmac_f64_e32 v[62:63], -0.5, v[24:25]
	v_mul_f64 v[20:21], v[20:21], s[10:11]
	v_mov_b64_e32 v[116:117], v[60:61]
	v_fmac_f64_e32 v[116:117], 2.0, v[20:21]
	v_fmac_f64_e32 v[62:63], s[10:11], v[18:19]
	v_mul_f64 v[20:21], v[200:201], s[22:23]
	v_mul_f64 v[18:19], v[18:19], s[10:11]
	v_mov_b64_e32 v[118:119], v[62:63]
	v_fmac_f64_e32 v[20:21], s[16:17], v[204:205]
	v_fmac_f64_e32 v[0:1], s[18:19], v[208:209]
	v_add_f64 v[58:59], v[120:121], v[58:59]
	v_fmac_f64_e32 v[118:119], -2.0, v[18:19]
	v_mul_f64 v[18:19], v[198:199], s[22:23]
	v_fmac_f64_e32 v[20:21], s[10:11], v[134:135]
	v_fmac_f64_e32 v[0:1], -0.5, v[214:215]
	v_mov_b64_e32 v[114:115], v[58:59]
	v_fmac_f64_e32 v[18:19], s[16:17], v[202:203]
	v_fmac_f64_e32 v[20:21], s[12:13], v[10:11]
	;; [unrolled: 1-line block ×4, first 2 shown]
	v_fmac_f64_e32 v[114:115], -2.0, v[120:121]
	v_fmac_f64_e32 v[18:19], s[10:11], v[218:219]
	v_fmac_f64_e32 v[14:15], -0.5, v[132:133]
	v_add_f64 v[120:121], v[0:1], -v[20:21]
	v_mul_f64 v[0:1], v[2:3], s[20:21]
	v_fmac_f64_e32 v[18:19], s[12:13], v[2:3]
	v_fmac_f64_e32 v[14:15], s[14:15], v[12:13]
	;; [unrolled: 1-line block ×4, first 2 shown]
	v_add_f64 v[122:123], v[18:19], v[14:15]
	v_fmac_f64_e32 v[0:1], s[24:25], v[218:219]
	v_mul_f64 v[14:15], v[10:11], s[20:21]
	v_fmac_f64_e32 v[16:17], -0.5, v[132:133]
	v_fmac_f64_e32 v[14:15], s[16:17], v[200:201]
	v_fmac_f64_e32 v[16:17], s[14:15], v[212:213]
	;; [unrolled: 1-line block ×5, first 2 shown]
	v_add_f64 v[134:135], v[0:1], v[16:17]
	v_mov_b64_e32 v[110:111], v[134:135]
	v_fmac_f64_e32 v[68:69], s[18:19], v[184:185]
	v_fmac_f64_e32 v[70:71], s[18:19], v[192:193]
	;; [unrolled: 1-line block ×5, first 2 shown]
	v_fmac_f64_e32 v[110:111], -2.0, v[0:1]
	v_add_f64 v[0:1], v[2:3], v[198:199]
	v_add_f64 v[2:3], v[10:11], v[200:201]
	;; [unrolled: 1-line block ×3, first 2 shown]
	v_fmac_f64_e32 v[188:189], s[10:11], v[170:171]
	v_fmac_f64_e32 v[194:195], s[10:11], v[168:169]
	v_fmac_f64_e32 v[68:69], -0.5, v[162:163]
	v_fmac_f64_e32 v[70:71], -0.5, v[164:165]
	v_fmac_f64_e32 v[174:175], s[10:11], v[218:219]
	v_fmac_f64_e32 v[48:49], -0.5, v[214:215]
	v_fmac_f64_e32 v[50:51], -0.5, v[132:133]
	v_fmac_f64_e32 v[8:9], -0.5, v[214:215]
	v_add_f64 v[2:3], v[2:3], -v[204:205]
	v_add_f64 v[6:7], v[12:13], v[6:7]
	v_fmac_f64_e32 v[72:73], -0.5, v[4:5]
	v_add_f64 v[56:57], v[56:57], -v[128:129]
	v_fmac_f64_e32 v[188:189], s[12:13], v[144:145]
	v_fmac_f64_e32 v[194:195], s[12:13], v[146:147]
	;; [unrolled: 1-line block ×10, first 2 shown]
	v_add_f64 v[0:1], v[0:1], -v[202:203]
	v_fmac_f64_e32 v[74:75], -0.5, v[6:7]
	v_fmac_f64_e32 v[72:73], s[24:25], v[2:3]
	v_add_f64 v[68:69], v[68:69], -v[194:195]
	v_add_f64 v[70:71], v[188:189], v[70:71]
	v_add_f64 v[48:49], v[48:49], -v[176:177]
	v_add_f64 v[50:51], v[174:175], v[50:51]
	v_mov_b64_e32 v[112:113], v[56:57]
	v_add_f64 v[132:133], v[8:9], -v[14:15]
	v_mul_f64 v[2:3], v[2:3], s[10:11]
	ds_write_b128 v160, v[140:143] offset:816
	v_mov_b64_e32 v[140:141], v[72:73]
	v_fmac_f64_e32 v[74:75], s[10:11], v[0:1]
	v_fmac_f64_e32 v[112:113], 2.0, v[128:129]
	v_mov_b64_e32 v[128:129], v[68:69]
	v_mov_b64_e32 v[130:131], v[70:71]
	;; [unrolled: 1-line block ×5, first 2 shown]
	v_fmac_f64_e32 v[140:141], 2.0, v[2:3]
	v_mul_f64 v[0:1], v[0:1], s[10:11]
	v_mov_b64_e32 v[142:143], v[74:75]
	ds_write_b128 v160, v[136:139] offset:1632
	v_mov_b64_e32 v[136:137], v[48:49]
	v_mov_b64_e32 v[138:139], v[50:51]
	v_accvgpr_read_b32 v2, a218
	v_fmac_f64_e32 v[128:129], 2.0, v[194:195]
	v_fmac_f64_e32 v[130:131], -2.0, v[188:189]
	v_fmac_f64_e32 v[92:93], 2.0, v[20:21]
	v_fmac_f64_e32 v[94:95], -2.0, v[18:19]
	;; [unrolled: 2-line block ×4, first 2 shown]
	v_accvgpr_read_b32 v0, a181
	v_accvgpr_read_b32 v4, a220
	;; [unrolled: 1-line block ×3, first 2 shown]
	ds_write_b128 v160, v[52:55] offset:2448
	ds_write_b128 v160, v[56:59] offset:3264
	;; [unrolled: 1-line block ×24, first 2 shown]
	s_waitcnt lgkmcnt(0)
	; wave barrier
	s_waitcnt lgkmcnt(0)
	ds_read_b128 v[84:87], v160 offset:7344
	ds_read_b128 v[48:51], v160
	ds_read_b128 v[52:55], v160 offset:816
	ds_read_b128 v[88:91], v160 offset:14688
	;; [unrolled: 1-line block ×22, first 2 shown]
	v_accvgpr_read_b32 v3, a219
	s_waitcnt lgkmcnt(14)
	v_mul_f64 v[6:7], v[4:5], v[86:87]
	v_mul_f64 v[0:1], v[4:5], v[84:85]
	v_fmac_f64_e32 v[6:7], v[2:3], v[84:85]
	v_fma_f64 v[8:9], v[2:3], v[86:87], -v[0:1]
	v_accvgpr_read_b32 v2, a214
	v_accvgpr_read_b32 v4, a216
	v_accvgpr_read_b32 v5, a217
	v_accvgpr_read_b32 v3, a215
	v_mul_f64 v[10:11], v[4:5], v[90:91]
	v_mul_f64 v[0:1], v[4:5], v[88:89]
	v_fmac_f64_e32 v[10:11], v[2:3], v[88:89]
	v_fma_f64 v[12:13], v[2:3], v[90:91], -v[0:1]
	v_accvgpr_read_b32 v2, a226
	v_accvgpr_read_b32 v4, a228
	v_accvgpr_read_b32 v5, a229
	v_accvgpr_read_b32 v3, a227
	;; [unrolled: 8-line block ×6, first 2 shown]
	s_waitcnt lgkmcnt(12)
	v_mul_f64 v[106:107], v[4:5], v[114:115]
	v_mul_f64 v[0:1], v[4:5], v[112:113]
	v_fmac_f64_e32 v[106:107], v[2:3], v[112:113]
	v_fma_f64 v[112:113], v[2:3], v[114:115], -v[0:1]
	v_accvgpr_read_b32 v2, a242
	v_accvgpr_read_b32 v4, a244
	;; [unrolled: 1-line block ×4, first 2 shown]
	v_mul_f64 v[114:115], v[4:5], v[110:111]
	v_mul_f64 v[0:1], v[4:5], v[108:109]
	v_fmac_f64_e32 v[114:115], v[2:3], v[108:109]
	v_fma_f64 v[108:109], v[2:3], v[110:111], -v[0:1]
	v_accvgpr_read_b32 v2, a246
	v_accvgpr_read_b32 v4, a248
	v_accvgpr_read_b32 v5, a249
	v_accvgpr_read_b32 v3, a247
	s_waitcnt lgkmcnt(11)
	v_mul_f64 v[110:111], v[4:5], v[118:119]
	v_mul_f64 v[0:1], v[4:5], v[116:117]
	v_fmac_f64_e32 v[110:111], v[2:3], v[116:117]
	v_fma_f64 v[116:117], v[2:3], v[118:119], -v[0:1]
	v_accvgpr_read_b32 v2, a250
	v_accvgpr_read_b32 v4, a252
	v_accvgpr_read_b32 v5, a253
	v_accvgpr_read_b32 v3, a251
	s_waitcnt lgkmcnt(8)
	;; [unrolled: 9-line block ×3, first 2 shown]
	v_mul_f64 v[122:123], v[4:5], v[130:131]
	v_mul_f64 v[0:1], v[4:5], v[128:129]
	v_fmac_f64_e32 v[122:123], v[2:3], v[128:129]
	v_fma_f64 v[128:129], v[2:3], v[130:131], -v[0:1]
	v_accvgpr_read_b32 v2, a174
	v_accvgpr_read_b32 v4, a176
	;; [unrolled: 1-line block ×4, first 2 shown]
	v_mul_f64 v[130:131], v[4:5], v[126:127]
	v_mul_f64 v[0:1], v[4:5], v[124:125]
	v_fmac_f64_e32 v[130:131], v[2:3], v[124:125]
	v_fma_f64 v[124:125], v[2:3], v[126:127], -v[0:1]
	v_accvgpr_read_b32 v2, a54
	v_accvgpr_read_b32 v4, a56
	;; [unrolled: 1-line block ×3, first 2 shown]
	ds_read_b128 v[84:87], v160 offset:13056
	ds_read_b128 v[88:91], v160 offset:13872
	v_accvgpr_read_b32 v3, a55
	s_waitcnt lgkmcnt(7)
	v_mul_f64 v[126:127], v[4:5], v[134:135]
	v_mul_f64 v[0:1], v[4:5], v[132:133]
	v_fmac_f64_e32 v[126:127], v[2:3], v[132:133]
	v_fma_f64 v[132:133], v[2:3], v[134:135], -v[0:1]
	v_accvgpr_read_b32 v2, a58
	ds_read_b128 v[96:99], v160 offset:21216
	v_accvgpr_read_b32 v4, a60
	v_accvgpr_read_b32 v5, a61
	;; [unrolled: 1-line block ×3, first 2 shown]
	s_waitcnt lgkmcnt(5)
	v_mul_f64 v[134:135], v[4:5], v[138:139]
	v_mul_f64 v[0:1], v[4:5], v[136:137]
	v_fmac_f64_e32 v[134:135], v[2:3], v[136:137]
	v_fma_f64 v[136:137], v[2:3], v[138:139], -v[0:1]
	s_waitcnt lgkmcnt(2)
	v_mul_f64 v[0:1], v[38:39], v[84:85]
	v_fma_f64 v[150:151], v[36:37], v[86:87], -v[0:1]
	v_mul_f64 v[152:153], v[32:33], v[142:143]
	v_mul_f64 v[0:1], v[32:33], v[140:141]
	v_fmac_f64_e32 v[152:153], v[30:31], v[140:141]
	v_fma_f64 v[140:141], v[30:31], v[142:143], -v[0:1]
	s_waitcnt lgkmcnt(1)
	v_mul_f64 v[0:1], v[46:47], v[88:89]
	v_fma_f64 v[20:21], v[44:45], v[90:91], -v[0:1]
	s_waitcnt lgkmcnt(0)
	v_mul_f64 v[0:1], v[42:43], v[96:97]
	v_add_f64 v[2:3], v[6:7], v[10:11]
	v_fma_f64 v[22:23], v[40:41], v[98:99], -v[0:1]
	v_add_f64 v[0:1], v[48:49], v[6:7]
	v_fmac_f64_e32 v[48:49], -0.5, v[2:3]
	v_add_f64 v[2:3], v[8:9], -v[12:13]
	v_fma_f64 v[4:5], s[0:1], v[2:3], v[48:49]
	v_fmac_f64_e32 v[48:49], s[8:9], v[2:3]
	v_add_f64 v[2:3], v[50:51], v[8:9]
	v_add_f64 v[8:9], v[8:9], v[12:13]
	;; [unrolled: 1-line block ×3, first 2 shown]
	v_fmac_f64_e32 v[50:51], -0.5, v[8:9]
	v_add_f64 v[8:9], v[6:7], -v[10:11]
	v_add_f64 v[10:11], v[14:15], v[26:27]
	v_fma_f64 v[6:7], s[8:9], v[8:9], v[50:51]
	v_fmac_f64_e32 v[50:51], s[0:1], v[8:9]
	v_add_f64 v[8:9], v[52:53], v[14:15]
	v_fmac_f64_e32 v[52:53], -0.5, v[10:11]
	v_add_f64 v[10:11], v[24:25], -v[92:93]
	v_add_f64 v[2:3], v[2:3], v[12:13]
	v_fma_f64 v[12:13], s[0:1], v[10:11], v[52:53]
	v_fmac_f64_e32 v[52:53], s[8:9], v[10:11]
	v_add_f64 v[10:11], v[54:55], v[24:25]
	v_add_f64 v[24:25], v[24:25], v[92:93]
	;; [unrolled: 1-line block ×3, first 2 shown]
	v_fmac_f64_e32 v[54:55], -0.5, v[24:25]
	v_add_f64 v[24:25], v[14:15], -v[26:27]
	v_add_f64 v[26:27], v[94:95], v[102:103]
	v_fma_f64 v[14:15], s[8:9], v[24:25], v[54:55]
	v_fmac_f64_e32 v[54:55], s[0:1], v[24:25]
	v_add_f64 v[24:25], v[56:57], v[94:95]
	v_fmac_f64_e32 v[56:57], -0.5, v[26:27]
	v_add_f64 v[26:27], v[100:101], -v[104:105]
	v_add_f64 v[30:31], v[100:101], v[104:105]
	v_fma_f64 v[28:29], s[0:1], v[26:27], v[56:57]
	v_fmac_f64_e32 v[56:57], s[8:9], v[26:27]
	v_add_f64 v[26:27], v[58:59], v[100:101]
	v_fmac_f64_e32 v[58:59], -0.5, v[30:31]
	v_add_f64 v[32:33], v[94:95], -v[102:103]
	v_add_f64 v[34:35], v[106:107], v[114:115]
	v_mul_f64 v[138:139], v[38:39], v[86:87]
	v_mul_f64 v[18:19], v[42:43], v[98:99]
	v_fma_f64 v[30:31], s[8:9], v[32:33], v[58:59]
	v_fmac_f64_e32 v[58:59], s[0:1], v[32:33]
	v_add_f64 v[32:33], v[60:61], v[106:107]
	v_fmac_f64_e32 v[60:61], -0.5, v[34:35]
	v_add_f64 v[34:35], v[112:113], -v[108:109]
	v_add_f64 v[38:39], v[112:113], v[108:109]
	v_fmac_f64_e32 v[138:139], v[36:37], v[84:85]
	v_fmac_f64_e32 v[18:19], v[40:41], v[96:97]
	v_fma_f64 v[36:37], s[0:1], v[34:35], v[60:61]
	v_fmac_f64_e32 v[60:61], s[8:9], v[34:35]
	v_add_f64 v[34:35], v[62:63], v[112:113]
	v_fmac_f64_e32 v[62:63], -0.5, v[38:39]
	v_add_f64 v[40:41], v[106:107], -v[114:115]
	v_add_f64 v[42:43], v[110:111], v[118:119]
	v_mul_f64 v[16:17], v[46:47], v[90:91]
	v_fma_f64 v[38:39], s[8:9], v[40:41], v[62:63]
	v_fmac_f64_e32 v[62:63], s[0:1], v[40:41]
	v_add_f64 v[40:41], v[64:65], v[110:111]
	v_fmac_f64_e32 v[64:65], -0.5, v[42:43]
	v_add_f64 v[42:43], v[116:117], -v[120:121]
	v_add_f64 v[46:47], v[116:117], v[120:121]
	v_fmac_f64_e32 v[16:17], v[44:45], v[88:89]
	v_fma_f64 v[44:45], s[0:1], v[42:43], v[64:65]
	v_fmac_f64_e32 v[64:65], s[8:9], v[42:43]
	v_add_f64 v[42:43], v[66:67], v[116:117]
	v_fmac_f64_e32 v[66:67], -0.5, v[46:47]
	v_add_f64 v[84:85], v[110:111], -v[118:119]
	v_add_f64 v[86:87], v[122:123], v[130:131]
	v_fma_f64 v[46:47], s[8:9], v[84:85], v[66:67]
	v_fmac_f64_e32 v[66:67], s[0:1], v[84:85]
	v_add_f64 v[84:85], v[68:69], v[122:123]
	v_fmac_f64_e32 v[68:69], -0.5, v[86:87]
	v_add_f64 v[86:87], v[128:129], -v[124:125]
	v_add_f64 v[90:91], v[128:129], v[124:125]
	v_add_f64 v[10:11], v[10:11], v[92:93]
	v_fma_f64 v[88:89], s[0:1], v[86:87], v[68:69]
	v_fmac_f64_e32 v[68:69], s[8:9], v[86:87]
	v_add_f64 v[86:87], v[70:71], v[128:129]
	v_fmac_f64_e32 v[70:71], -0.5, v[90:91]
	v_add_f64 v[92:93], v[122:123], -v[130:131]
	v_add_f64 v[94:95], v[126:127], v[134:135]
	v_fma_f64 v[90:91], s[8:9], v[92:93], v[70:71]
	v_fmac_f64_e32 v[70:71], s[0:1], v[92:93]
	v_add_f64 v[92:93], v[76:77], v[126:127]
	v_fmac_f64_e32 v[76:77], -0.5, v[94:95]
	v_add_f64 v[94:95], v[132:133], -v[136:137]
	v_add_f64 v[98:99], v[132:133], v[136:137]
	v_add_f64 v[24:25], v[24:25], v[102:103]
	;; [unrolled: 13-line block ×3, first 2 shown]
	v_add_f64 v[34:35], v[34:35], v[108:109]
	v_fma_f64 v[104:105], s[0:1], v[102:103], v[80:81]
	v_fmac_f64_e32 v[80:81], s[8:9], v[102:103]
	v_add_f64 v[102:103], v[82:83], v[150:151]
	v_fmac_f64_e32 v[82:83], -0.5, v[106:107]
	v_add_f64 v[108:109], v[138:139], -v[152:153]
	v_add_f64 v[110:111], v[16:17], v[18:19]
	v_fma_f64 v[106:107], s[8:9], v[108:109], v[82:83]
	v_fmac_f64_e32 v[82:83], s[0:1], v[108:109]
	v_add_f64 v[108:109], v[72:73], v[16:17]
	v_fmac_f64_e32 v[72:73], -0.5, v[110:111]
	v_add_f64 v[110:111], v[20:21], -v[22:23]
	v_fma_f64 v[112:113], s[0:1], v[110:111], v[72:73]
	v_fmac_f64_e32 v[72:73], s[8:9], v[110:111]
	v_add_f64 v[110:111], v[74:75], v[20:21]
	v_add_f64 v[20:21], v[20:21], v[22:23]
	v_fmac_f64_e32 v[74:75], -0.5, v[20:21]
	v_add_f64 v[16:17], v[16:17], -v[18:19]
	v_add_f64 v[32:33], v[32:33], v[114:115]
	v_add_f64 v[40:41], v[40:41], v[118:119]
	;; [unrolled: 1-line block ×11, first 2 shown]
	v_fma_f64 v[114:115], s[8:9], v[16:17], v[74:75]
	v_fmac_f64_e32 v[74:75], s[0:1], v[16:17]
	ds_write_b128 v160, v[0:3]
	ds_write_b128 v160, v[4:7] offset:7344
	ds_write_b128 v160, v[48:51] offset:14688
	ds_write_b128 v160, v[8:11] offset:816
	ds_write_b128 v160, v[12:15] offset:8160
	ds_write_b128 v160, v[52:55] offset:15504
	ds_write_b128 v160, v[24:27] offset:1632
	ds_write_b128 v160, v[28:31] offset:8976
	ds_write_b128 v160, v[56:59] offset:16320
	ds_write_b128 v160, v[32:35] offset:2448
	ds_write_b128 v160, v[36:39] offset:9792
	ds_write_b128 v160, v[60:63] offset:17136
	ds_write_b128 v160, v[40:43] offset:3264
	ds_write_b128 v160, v[44:47] offset:10608
	ds_write_b128 v160, v[64:67] offset:17952
	ds_write_b128 v160, v[84:87] offset:4080
	ds_write_b128 v160, v[88:91] offset:11424
	ds_write_b128 v160, v[68:71] offset:18768
	ds_write_b128 v160, v[92:95] offset:4896
	ds_write_b128 v160, v[96:99] offset:12240
	ds_write_b128 v160, v[76:79] offset:19584
	ds_write_b128 v160, v[100:103] offset:5712
	ds_write_b128 v160, v[104:107] offset:13056
	ds_write_b128 v160, v[80:83] offset:20400
	ds_write_b128 v160, v[108:111] offset:6528
	ds_write_b128 v160, v[112:115] offset:13872
	ds_write_b128 v160, v[72:75] offset:21216
	s_waitcnt lgkmcnt(0)
	; wave barrier
	s_waitcnt lgkmcnt(0)
	ds_read_b128 v[0:3], v160
	v_accvgpr_read_b32 v154, a4
	v_mov_b32_e32 v144, s2
	v_mov_b32_e32 v145, s3
	v_mad_u64_u32 v[146:147], s[2:3], s6, v154, 0
	v_mov_b32_e32 v148, v147
	v_accvgpr_read_b32 v13, a9
	v_mad_u64_u32 v[4:5], s[0:1], s7, v154, v[148:149]
	v_accvgpr_read_b32 v12, a8
	v_mov_b32_e32 v147, v4
	ds_read_b128 v[4:7], v160 offset:1296
	v_accvgpr_read_b32 v11, a7
	v_accvgpr_read_b32 v10, a6
	s_waitcnt lgkmcnt(1)
	v_mul_f64 v[8:9], v[12:13], v[2:3]
	v_fmac_f64_e32 v[8:9], v[10:11], v[0:1]
	s_mov_b32 s0, 0xdee863a6
	v_mul_f64 v[0:1], v[12:13], v[0:1]
	s_mov_b32 s1, 0x3f47cbf1
	v_fma_f64 v[0:1], v[10:11], v[2:3], -v[0:1]
	v_mul_f64 v[10:11], v[0:1], s[0:1]
	v_mad_u64_u32 v[0:1], s[2:3], s4, v238, 0
	v_mov_b32_e32 v2, v1
	v_mad_u64_u32 v[2:3], s[2:3], s5, v238, v[2:3]
	v_mov_b32_e32 v1, v2
	v_lshl_add_u64 v[2:3], v[146:147], 4, v[144:145]
	v_mul_f64 v[8:9], v[8:9], s[0:1]
	v_lshl_add_u64 v[12:13], v[0:1], 4, v[2:3]
	global_store_dwordx4 v[12:13], v[8:11], off
	s_mul_i32 s2, s5, 0x51
	s_mul_hi_u32 s3, s4, 0x51
	v_accvgpr_read_b32 v8, a42
	v_accvgpr_read_b32 v10, a44
	;; [unrolled: 1-line block ×4, first 2 shown]
	s_waitcnt lgkmcnt(0)
	v_mul_f64 v[0:1], v[10:11], v[6:7]
	v_mul_f64 v[2:3], v[10:11], v[4:5]
	v_fmac_f64_e32 v[0:1], v[8:9], v[4:5]
	v_fma_f64 v[2:3], v[8:9], v[6:7], -v[2:3]
	ds_read_b128 v[4:7], v160 offset:2592
	s_add_i32 s3, s3, s2
	s_mul_i32 s2, s4, 0x51
	s_lshl_b64 s[2:3], s[2:3], 4
	v_accvgpr_read_b32 v17, a13
	v_mul_f64 v[0:1], v[0:1], s[0:1]
	v_mul_f64 v[2:3], v[2:3], s[0:1]
	v_lshl_add_u64 v[12:13], v[12:13], 0, s[2:3]
	v_accvgpr_read_b32 v16, a12
	global_store_dwordx4 v[12:13], v[0:3], off
	ds_read_b128 v[0:3], v160 offset:3888
	v_accvgpr_read_b32 v15, a11
	v_accvgpr_read_b32 v14, a10
	s_waitcnt lgkmcnt(1)
	v_mul_f64 v[8:9], v[16:17], v[6:7]
	v_fmac_f64_e32 v[8:9], v[14:15], v[4:5]
	v_mul_f64 v[4:5], v[16:17], v[4:5]
	v_fma_f64 v[4:5], v[14:15], v[6:7], -v[4:5]
	v_mul_f64 v[8:9], v[8:9], s[0:1]
	v_mul_f64 v[10:11], v[4:5], s[0:1]
	v_lshl_add_u64 v[12:13], v[12:13], 0, s[2:3]
	global_store_dwordx4 v[12:13], v[8:11], off
	v_accvgpr_read_b32 v6, a26
	v_accvgpr_read_b32 v7, a27
	;; [unrolled: 1-line block ×4, first 2 shown]
	s_waitcnt lgkmcnt(0)
	v_mul_f64 v[4:5], v[8:9], v[2:3]
	v_fmac_f64_e32 v[4:5], v[6:7], v[0:1]
	v_mul_f64 v[0:1], v[8:9], v[0:1]
	v_fma_f64 v[6:7], v[6:7], v[2:3], -v[0:1]
	ds_read_b128 v[0:3], v160 offset:5184
	v_accvgpr_read_b32 v14, a18
	v_mul_f64 v[4:5], v[4:5], s[0:1]
	v_mul_f64 v[6:7], v[6:7], s[0:1]
	v_lshl_add_u64 v[12:13], v[12:13], 0, s[2:3]
	v_accvgpr_read_b32 v16, a20
	v_accvgpr_read_b32 v17, a21
	global_store_dwordx4 v[12:13], v[4:7], off
	ds_read_b128 v[4:7], v160 offset:6480
	v_accvgpr_read_b32 v15, a19
	s_waitcnt lgkmcnt(1)
	v_mul_f64 v[8:9], v[16:17], v[2:3]
	v_fmac_f64_e32 v[8:9], v[14:15], v[0:1]
	v_mul_f64 v[0:1], v[16:17], v[0:1]
	v_fma_f64 v[0:1], v[14:15], v[2:3], -v[0:1]
	v_mul_f64 v[8:9], v[8:9], s[0:1]
	v_mul_f64 v[10:11], v[0:1], s[0:1]
	v_lshl_add_u64 v[12:13], v[12:13], 0, s[2:3]
	global_store_dwordx4 v[12:13], v[8:11], off
	v_accvgpr_read_b32 v14, a14
	v_lshl_add_u64 v[12:13], v[12:13], 0, s[2:3]
	v_accvgpr_read_b32 v8, a30
	v_accvgpr_read_b32 v10, a32
	;; [unrolled: 1-line block ×4, first 2 shown]
	s_waitcnt lgkmcnt(0)
	v_mul_f64 v[0:1], v[10:11], v[6:7]
	v_mul_f64 v[2:3], v[10:11], v[4:5]
	v_fmac_f64_e32 v[0:1], v[8:9], v[4:5]
	v_fma_f64 v[2:3], v[8:9], v[6:7], -v[2:3]
	ds_read_b128 v[4:7], v160 offset:7776
	v_mul_f64 v[0:1], v[0:1], s[0:1]
	v_mul_f64 v[2:3], v[2:3], s[0:1]
	v_accvgpr_read_b32 v16, a16
	v_accvgpr_read_b32 v17, a17
	global_store_dwordx4 v[12:13], v[0:3], off
	ds_read_b128 v[0:3], v160 offset:9072
	v_accvgpr_read_b32 v15, a15
	s_waitcnt lgkmcnt(1)
	v_mul_f64 v[8:9], v[16:17], v[6:7]
	v_fmac_f64_e32 v[8:9], v[14:15], v[4:5]
	v_mul_f64 v[4:5], v[16:17], v[4:5]
	v_fma_f64 v[4:5], v[14:15], v[6:7], -v[4:5]
	v_mul_f64 v[8:9], v[8:9], s[0:1]
	v_mul_f64 v[10:11], v[4:5], s[0:1]
	v_lshl_add_u64 v[12:13], v[12:13], 0, s[2:3]
	global_store_dwordx4 v[12:13], v[8:11], off
	v_accvgpr_read_b32 v6, a46
	v_accvgpr_read_b32 v7, a47
	;; [unrolled: 1-line block ×4, first 2 shown]
	s_waitcnt lgkmcnt(0)
	v_mul_f64 v[4:5], v[8:9], v[2:3]
	v_fmac_f64_e32 v[4:5], v[6:7], v[0:1]
	v_mul_f64 v[0:1], v[8:9], v[0:1]
	v_fma_f64 v[6:7], v[6:7], v[2:3], -v[0:1]
	ds_read_b128 v[0:3], v160 offset:10368
	v_accvgpr_read_b32 v14, a22
	v_mul_f64 v[4:5], v[4:5], s[0:1]
	v_mul_f64 v[6:7], v[6:7], s[0:1]
	v_lshl_add_u64 v[12:13], v[12:13], 0, s[2:3]
	v_accvgpr_read_b32 v16, a24
	v_accvgpr_read_b32 v17, a25
	global_store_dwordx4 v[12:13], v[4:7], off
	ds_read_b128 v[4:7], v160 offset:11664
	v_accvgpr_read_b32 v15, a23
	s_waitcnt lgkmcnt(1)
	v_mul_f64 v[8:9], v[16:17], v[2:3]
	v_fmac_f64_e32 v[8:9], v[14:15], v[0:1]
	v_mul_f64 v[0:1], v[16:17], v[0:1]
	v_fma_f64 v[0:1], v[14:15], v[2:3], -v[0:1]
	v_mul_f64 v[8:9], v[8:9], s[0:1]
	v_mul_f64 v[10:11], v[0:1], s[0:1]
	v_lshl_add_u64 v[12:13], v[12:13], 0, s[2:3]
	global_store_dwordx4 v[12:13], v[8:11], off
	v_accvgpr_read_b32 v14, a34
	v_lshl_add_u64 v[12:13], v[12:13], 0, s[2:3]
	v_accvgpr_read_b32 v8, a50
	v_accvgpr_read_b32 v10, a52
	;; [unrolled: 1-line block ×4, first 2 shown]
	s_waitcnt lgkmcnt(0)
	v_mul_f64 v[0:1], v[10:11], v[6:7]
	v_mul_f64 v[2:3], v[10:11], v[4:5]
	v_fmac_f64_e32 v[0:1], v[8:9], v[4:5]
	v_fma_f64 v[2:3], v[8:9], v[6:7], -v[2:3]
	ds_read_b128 v[4:7], v160 offset:12960
	v_mul_f64 v[0:1], v[0:1], s[0:1]
	v_mul_f64 v[2:3], v[2:3], s[0:1]
	v_accvgpr_read_b32 v16, a36
	v_accvgpr_read_b32 v17, a37
	global_store_dwordx4 v[12:13], v[0:3], off
	ds_read_b128 v[0:3], v160 offset:14256
	v_accvgpr_read_b32 v15, a35
	s_waitcnt lgkmcnt(1)
	v_mul_f64 v[8:9], v[16:17], v[6:7]
	v_fmac_f64_e32 v[8:9], v[14:15], v[4:5]
	v_mul_f64 v[4:5], v[16:17], v[4:5]
	v_fma_f64 v[4:5], v[14:15], v[6:7], -v[4:5]
	v_mul_f64 v[8:9], v[8:9], s[0:1]
	v_mul_f64 v[10:11], v[4:5], s[0:1]
	v_lshl_add_u64 v[12:13], v[12:13], 0, s[2:3]
	global_store_dwordx4 v[12:13], v[8:11], off
	scratch_load_dwordx4 v[6:9], off, off offset:84 ; 16-byte Folded Reload
	v_lshl_add_u64 v[12:13], v[12:13], 0, s[2:3]
	scratch_load_dwordx4 v[14:17], off, off offset:68 ; 16-byte Folded Reload
	s_waitcnt vmcnt(1) lgkmcnt(0)
	v_mul_f64 v[4:5], v[8:9], v[2:3]
	v_fmac_f64_e32 v[4:5], v[6:7], v[0:1]
	v_mul_f64 v[0:1], v[8:9], v[0:1]
	v_fma_f64 v[6:7], v[6:7], v[2:3], -v[0:1]
	ds_read_b128 v[0:3], v160 offset:15552
	v_mul_f64 v[4:5], v[4:5], s[0:1]
	v_mul_f64 v[6:7], v[6:7], s[0:1]
	global_store_dwordx4 v[12:13], v[4:7], off
	ds_read_b128 v[4:7], v160 offset:16848
	s_waitcnt vmcnt(1) lgkmcnt(1)
	v_mul_f64 v[8:9], v[16:17], v[2:3]
	v_fmac_f64_e32 v[8:9], v[14:15], v[0:1]
	v_mul_f64 v[0:1], v[16:17], v[0:1]
	v_fma_f64 v[0:1], v[14:15], v[2:3], -v[0:1]
	v_mul_f64 v[8:9], v[8:9], s[0:1]
	v_mul_f64 v[10:11], v[0:1], s[0:1]
	v_lshl_add_u64 v[12:13], v[12:13], 0, s[2:3]
	global_store_dwordx4 v[12:13], v[8:11], off
	scratch_load_dwordx4 v[8:11], off, off offset:52 ; 16-byte Folded Reload
	v_lshl_add_u64 v[12:13], v[12:13], 0, s[2:3]
	scratch_load_dwordx4 v[14:17], off, off offset:36 ; 16-byte Folded Reload
	s_waitcnt vmcnt(1) lgkmcnt(0)
	v_mul_f64 v[0:1], v[10:11], v[6:7]
	v_mul_f64 v[2:3], v[10:11], v[4:5]
	v_fmac_f64_e32 v[0:1], v[8:9], v[4:5]
	v_fma_f64 v[2:3], v[8:9], v[6:7], -v[2:3]
	ds_read_b128 v[4:7], v160 offset:18144
	v_mul_f64 v[0:1], v[0:1], s[0:1]
	v_mul_f64 v[2:3], v[2:3], s[0:1]
	global_store_dwordx4 v[12:13], v[0:3], off
	ds_read_b128 v[0:3], v160 offset:19440
	s_waitcnt vmcnt(1) lgkmcnt(1)
	v_mul_f64 v[8:9], v[16:17], v[6:7]
	v_fmac_f64_e32 v[8:9], v[14:15], v[4:5]
	v_mul_f64 v[4:5], v[16:17], v[4:5]
	v_fma_f64 v[4:5], v[14:15], v[6:7], -v[4:5]
	v_mul_f64 v[8:9], v[8:9], s[0:1]
	v_mul_f64 v[10:11], v[4:5], s[0:1]
	v_lshl_add_u64 v[12:13], v[12:13], 0, s[2:3]
	global_store_dwordx4 v[12:13], v[8:11], off
	scratch_load_dwordx4 v[6:9], off, off offset:20 ; 16-byte Folded Reload
	s_waitcnt vmcnt(0) lgkmcnt(0)
	v_mul_f64 v[4:5], v[8:9], v[2:3]
	v_fmac_f64_e32 v[4:5], v[6:7], v[0:1]
	v_mul_f64 v[0:1], v[8:9], v[0:1]
	v_fma_f64 v[0:1], v[6:7], v[2:3], -v[0:1]
	v_mul_f64 v[6:7], v[0:1], s[0:1]
	v_lshl_add_u64 v[0:1], v[12:13], 0, s[2:3]
	scratch_load_dwordx4 v[12:15], off, off offset:4 ; 16-byte Folded Reload
	ds_read_b128 v[8:11], v160 offset:20736
	v_mul_f64 v[4:5], v[4:5], s[0:1]
	global_store_dwordx4 v[0:1], v[4:7], off
	v_lshl_add_u64 v[0:1], v[0:1], 0, s[2:3]
	s_waitcnt vmcnt(1) lgkmcnt(0)
	v_mul_f64 v[2:3], v[14:15], v[10:11]
	v_mul_f64 v[4:5], v[14:15], v[8:9]
	v_fmac_f64_e32 v[2:3], v[12:13], v[8:9]
	v_fma_f64 v[4:5], v[12:13], v[10:11], -v[4:5]
	v_mul_f64 v[2:3], v[2:3], s[0:1]
	v_mul_f64 v[4:5], v[4:5], s[0:1]
	global_store_dwordx4 v[0:1], v[2:5], off
	s_and_b64 exec, exec, vcc
	s_cbranch_execz .LBB0_15
; %bb.14:
	v_accvgpr_read_b32 v19, a64             ;  Reload Reuse
	v_accvgpr_read_b32 v18, a65             ;  Reload Reuse
	global_load_dwordx4 v[2:5], v[18:19], off offset:816
	ds_read_b128 v[6:9], v160 offset:816
	ds_read_b128 v[10:13], v160 offset:2112
	v_mov_b32_e32 v14, 0xffffb230
	s_mulk_i32 s5, 0xb230
	v_mad_u64_u32 v[14:15], s[6:7], s4, v14, v[0:1]
	s_sub_i32 s4, s5, s4
	v_add_u32_e32 v15, s4, v15
	s_movk_i32 s4, 0x1000
	s_waitcnt vmcnt(0) lgkmcnt(1)
	v_mul_f64 v[0:1], v[8:9], v[4:5]
	v_mul_f64 v[4:5], v[6:7], v[4:5]
	v_fmac_f64_e32 v[0:1], v[6:7], v[2:3]
	v_fma_f64 v[2:3], v[2:3], v[8:9], -v[4:5]
	v_mul_f64 v[0:1], v[0:1], s[0:1]
	v_mul_f64 v[2:3], v[2:3], s[0:1]
	global_store_dwordx4 v[14:15], v[0:3], off
	global_load_dwordx4 v[0:3], v[18:19], off offset:2112
	v_lshl_add_u64 v[14:15], v[14:15], 0, s[2:3]
	s_waitcnt vmcnt(0) lgkmcnt(0)
	v_mul_f64 v[4:5], v[12:13], v[2:3]
	v_mul_f64 v[2:3], v[10:11], v[2:3]
	v_fmac_f64_e32 v[4:5], v[10:11], v[0:1]
	v_fma_f64 v[2:3], v[0:1], v[12:13], -v[2:3]
	v_mul_f64 v[0:1], v[4:5], s[0:1]
	v_mul_f64 v[2:3], v[2:3], s[0:1]
	global_store_dwordx4 v[14:15], v[0:3], off
	global_load_dwordx4 v[0:3], v[18:19], off offset:3408
	ds_read_b128 v[4:7], v160 offset:3408
	ds_read_b128 v[8:11], v160 offset:4704
	v_add_co_u32_e32 v12, vcc, s4, v18
	v_lshl_add_u64 v[14:15], v[14:15], 0, s[2:3]
	s_nop 0
	v_addc_co_u32_e32 v13, vcc, 0, v19, vcc
	s_movk_i32 s4, 0x2000
	s_waitcnt vmcnt(0) lgkmcnt(1)
	v_mul_f64 v[16:17], v[6:7], v[2:3]
	v_mul_f64 v[2:3], v[4:5], v[2:3]
	v_fmac_f64_e32 v[16:17], v[4:5], v[0:1]
	v_fma_f64 v[2:3], v[0:1], v[6:7], -v[2:3]
	v_mul_f64 v[0:1], v[16:17], s[0:1]
	v_mul_f64 v[2:3], v[2:3], s[0:1]
	global_store_dwordx4 v[14:15], v[0:3], off
	global_load_dwordx4 v[0:3], v[12:13], off offset:608
	v_lshl_add_u64 v[14:15], v[14:15], 0, s[2:3]
	s_waitcnt vmcnt(0) lgkmcnt(0)
	v_mul_f64 v[4:5], v[10:11], v[2:3]
	v_mul_f64 v[2:3], v[8:9], v[2:3]
	v_fmac_f64_e32 v[4:5], v[8:9], v[0:1]
	v_fma_f64 v[2:3], v[0:1], v[10:11], -v[2:3]
	v_mul_f64 v[0:1], v[4:5], s[0:1]
	v_mul_f64 v[2:3], v[2:3], s[0:1]
	global_store_dwordx4 v[14:15], v[0:3], off
	global_load_dwordx4 v[0:3], v[12:13], off offset:1904
	ds_read_b128 v[4:7], v160 offset:6000
	ds_read_b128 v[8:11], v160 offset:7296
	v_lshl_add_u64 v[14:15], v[14:15], 0, s[2:3]
	s_waitcnt vmcnt(0) lgkmcnt(1)
	v_mul_f64 v[16:17], v[6:7], v[2:3]
	v_mul_f64 v[2:3], v[4:5], v[2:3]
	v_fmac_f64_e32 v[16:17], v[4:5], v[0:1]
	v_fma_f64 v[2:3], v[0:1], v[6:7], -v[2:3]
	v_mul_f64 v[0:1], v[16:17], s[0:1]
	v_mul_f64 v[2:3], v[2:3], s[0:1]
	global_store_dwordx4 v[14:15], v[0:3], off
	global_load_dwordx4 v[0:3], v[12:13], off offset:3200
	v_add_co_u32_e32 v12, vcc, s4, v18
	v_lshl_add_u64 v[14:15], v[14:15], 0, s[2:3]
	s_nop 0
	v_addc_co_u32_e32 v13, vcc, 0, v19, vcc
	s_movk_i32 s4, 0x3000
	s_waitcnt vmcnt(0) lgkmcnt(0)
	v_mul_f64 v[4:5], v[10:11], v[2:3]
	v_mul_f64 v[2:3], v[8:9], v[2:3]
	v_fmac_f64_e32 v[4:5], v[8:9], v[0:1]
	v_fma_f64 v[2:3], v[0:1], v[10:11], -v[2:3]
	v_mul_f64 v[0:1], v[4:5], s[0:1]
	v_mul_f64 v[2:3], v[2:3], s[0:1]
	global_store_dwordx4 v[14:15], v[0:3], off
	global_load_dwordx4 v[0:3], v[12:13], off offset:400
	ds_read_b128 v[4:7], v160 offset:8592
	ds_read_b128 v[8:11], v160 offset:9888
	v_lshl_add_u64 v[14:15], v[14:15], 0, s[2:3]
	s_waitcnt vmcnt(0) lgkmcnt(1)
	v_mul_f64 v[16:17], v[6:7], v[2:3]
	v_mul_f64 v[2:3], v[4:5], v[2:3]
	v_fmac_f64_e32 v[16:17], v[4:5], v[0:1]
	v_fma_f64 v[2:3], v[0:1], v[6:7], -v[2:3]
	v_mul_f64 v[0:1], v[16:17], s[0:1]
	v_mul_f64 v[2:3], v[2:3], s[0:1]
	global_store_dwordx4 v[14:15], v[0:3], off
	global_load_dwordx4 v[0:3], v[12:13], off offset:1696
	v_lshl_add_u64 v[14:15], v[14:15], 0, s[2:3]
	s_waitcnt vmcnt(0) lgkmcnt(0)
	v_mul_f64 v[4:5], v[10:11], v[2:3]
	v_mul_f64 v[2:3], v[8:9], v[2:3]
	v_fmac_f64_e32 v[4:5], v[8:9], v[0:1]
	v_fma_f64 v[2:3], v[0:1], v[10:11], -v[2:3]
	v_mul_f64 v[0:1], v[4:5], s[0:1]
	v_mul_f64 v[2:3], v[2:3], s[0:1]
	global_store_dwordx4 v[14:15], v[0:3], off
	global_load_dwordx4 v[0:3], v[12:13], off offset:2992
	ds_read_b128 v[4:7], v160 offset:11184
	ds_read_b128 v[8:11], v160 offset:12480
	v_add_co_u32_e32 v12, vcc, s4, v18
	v_lshl_add_u64 v[14:15], v[14:15], 0, s[2:3]
	s_nop 0
	v_addc_co_u32_e32 v13, vcc, 0, v19, vcc
	s_movk_i32 s4, 0x4000
	s_waitcnt vmcnt(0) lgkmcnt(1)
	v_mul_f64 v[16:17], v[6:7], v[2:3]
	v_mul_f64 v[2:3], v[4:5], v[2:3]
	v_fmac_f64_e32 v[16:17], v[4:5], v[0:1]
	v_fma_f64 v[2:3], v[0:1], v[6:7], -v[2:3]
	v_mul_f64 v[0:1], v[16:17], s[0:1]
	v_mul_f64 v[2:3], v[2:3], s[0:1]
	global_store_dwordx4 v[14:15], v[0:3], off
	global_load_dwordx4 v[0:3], v[12:13], off offset:192
	v_lshl_add_u64 v[14:15], v[14:15], 0, s[2:3]
	s_waitcnt vmcnt(0) lgkmcnt(0)
	v_mul_f64 v[4:5], v[10:11], v[2:3]
	v_mul_f64 v[2:3], v[8:9], v[2:3]
	v_fmac_f64_e32 v[4:5], v[8:9], v[0:1]
	v_fma_f64 v[2:3], v[0:1], v[10:11], -v[2:3]
	v_mul_f64 v[0:1], v[4:5], s[0:1]
	v_mul_f64 v[2:3], v[2:3], s[0:1]
	global_store_dwordx4 v[14:15], v[0:3], off
	global_load_dwordx4 v[0:3], v[12:13], off offset:1488
	ds_read_b128 v[4:7], v160 offset:13776
	ds_read_b128 v[8:11], v160 offset:15072
	v_lshl_add_u64 v[14:15], v[14:15], 0, s[2:3]
	s_waitcnt vmcnt(0) lgkmcnt(1)
	v_mul_f64 v[16:17], v[6:7], v[2:3]
	v_mul_f64 v[2:3], v[4:5], v[2:3]
	v_fmac_f64_e32 v[16:17], v[4:5], v[0:1]
	v_fma_f64 v[2:3], v[0:1], v[6:7], -v[2:3]
	v_mul_f64 v[0:1], v[16:17], s[0:1]
	v_mul_f64 v[2:3], v[2:3], s[0:1]
	global_store_dwordx4 v[14:15], v[0:3], off
	global_load_dwordx4 v[0:3], v[12:13], off offset:2784
	v_lshl_add_u64 v[14:15], v[14:15], 0, s[2:3]
	s_waitcnt vmcnt(0) lgkmcnt(0)
	v_mul_f64 v[4:5], v[10:11], v[2:3]
	v_mul_f64 v[2:3], v[8:9], v[2:3]
	v_fmac_f64_e32 v[4:5], v[8:9], v[0:1]
	v_fma_f64 v[2:3], v[0:1], v[10:11], -v[2:3]
	v_mul_f64 v[0:1], v[4:5], s[0:1]
	v_mul_f64 v[2:3], v[2:3], s[0:1]
	global_store_dwordx4 v[14:15], v[0:3], off
	global_load_dwordx4 v[0:3], v[12:13], off offset:4080
	ds_read_b128 v[4:7], v160 offset:16368
	ds_read_b128 v[8:11], v160 offset:17664
	v_add_co_u32_e32 v12, vcc, s4, v18
	v_lshl_add_u64 v[14:15], v[14:15], 0, s[2:3]
	s_nop 0
	v_addc_co_u32_e32 v13, vcc, 0, v19, vcc
	s_movk_i32 s4, 0x5000
	s_waitcnt vmcnt(0) lgkmcnt(1)
	v_mul_f64 v[16:17], v[6:7], v[2:3]
	v_mul_f64 v[2:3], v[4:5], v[2:3]
	v_fmac_f64_e32 v[16:17], v[4:5], v[0:1]
	v_fma_f64 v[2:3], v[0:1], v[6:7], -v[2:3]
	v_mul_f64 v[0:1], v[16:17], s[0:1]
	v_mul_f64 v[2:3], v[2:3], s[0:1]
	global_store_dwordx4 v[14:15], v[0:3], off
	global_load_dwordx4 v[0:3], v[12:13], off offset:1280
	v_lshl_add_u64 v[14:15], v[14:15], 0, s[2:3]
	s_waitcnt vmcnt(0) lgkmcnt(0)
	v_mul_f64 v[4:5], v[10:11], v[2:3]
	v_mul_f64 v[2:3], v[8:9], v[2:3]
	v_fmac_f64_e32 v[4:5], v[8:9], v[0:1]
	v_fma_f64 v[2:3], v[0:1], v[10:11], -v[2:3]
	v_mul_f64 v[0:1], v[4:5], s[0:1]
	v_mul_f64 v[2:3], v[2:3], s[0:1]
	global_store_dwordx4 v[14:15], v[0:3], off
	global_load_dwordx4 v[0:3], v[12:13], off offset:2576
	ds_read_b128 v[4:7], v160 offset:18960
	ds_read_b128 v[8:11], v160 offset:20256
	v_lshl_add_u64 v[14:15], v[14:15], 0, s[2:3]
	s_waitcnt vmcnt(0) lgkmcnt(1)
	v_mul_f64 v[16:17], v[6:7], v[2:3]
	v_mul_f64 v[2:3], v[4:5], v[2:3]
	v_fmac_f64_e32 v[16:17], v[4:5], v[0:1]
	v_fma_f64 v[2:3], v[0:1], v[6:7], -v[2:3]
	v_mul_f64 v[0:1], v[16:17], s[0:1]
	v_mul_f64 v[2:3], v[2:3], s[0:1]
	global_store_dwordx4 v[14:15], v[0:3], off
	global_load_dwordx4 v[0:3], v[12:13], off offset:3872
	v_add_co_u32_e32 v4, vcc, s4, v18
	v_lshl_add_u64 v[12:13], v[14:15], 0, s[2:3]
	s_nop 0
	v_addc_co_u32_e32 v5, vcc, 0, v19, vcc
	s_waitcnt vmcnt(0) lgkmcnt(0)
	v_mul_f64 v[6:7], v[10:11], v[2:3]
	v_mul_f64 v[2:3], v[8:9], v[2:3]
	v_fmac_f64_e32 v[6:7], v[8:9], v[0:1]
	v_fma_f64 v[2:3], v[0:1], v[10:11], -v[2:3]
	v_mul_f64 v[0:1], v[6:7], s[0:1]
	v_mul_f64 v[2:3], v[2:3], s[0:1]
	global_store_dwordx4 v[12:13], v[0:3], off
	global_load_dwordx4 v[0:3], v[4:5], off offset:1072
	ds_read_b128 v[4:7], v160 offset:21552
	s_waitcnt vmcnt(0) lgkmcnt(0)
	v_mul_f64 v[8:9], v[6:7], v[2:3]
	v_mul_f64 v[2:3], v[4:5], v[2:3]
	v_fmac_f64_e32 v[8:9], v[4:5], v[0:1]
	v_fma_f64 v[2:3], v[0:1], v[6:7], -v[2:3]
	v_mul_f64 v[0:1], v[8:9], s[0:1]
	v_mul_f64 v[2:3], v[2:3], s[0:1]
	v_lshl_add_u64 v[4:5], v[12:13], 0, s[2:3]
	global_store_dwordx4 v[4:5], v[0:3], off
.LBB0_15:
	s_endpgm
	.section	.rodata,"a",@progbits
	.p2align	6, 0x0
	.amdhsa_kernel bluestein_single_back_len1377_dim1_dp_op_CI_CI
		.amdhsa_group_segment_fixed_size 22032
		.amdhsa_private_segment_fixed_size 108
		.amdhsa_kernarg_size 104
		.amdhsa_user_sgpr_count 2
		.amdhsa_user_sgpr_dispatch_ptr 0
		.amdhsa_user_sgpr_queue_ptr 0
		.amdhsa_user_sgpr_kernarg_segment_ptr 1
		.amdhsa_user_sgpr_dispatch_id 0
		.amdhsa_user_sgpr_kernarg_preload_length 0
		.amdhsa_user_sgpr_kernarg_preload_offset 0
		.amdhsa_user_sgpr_private_segment_size 0
		.amdhsa_uses_dynamic_stack 0
		.amdhsa_enable_private_segment 1
		.amdhsa_system_sgpr_workgroup_id_x 1
		.amdhsa_system_sgpr_workgroup_id_y 0
		.amdhsa_system_sgpr_workgroup_id_z 0
		.amdhsa_system_sgpr_workgroup_info 0
		.amdhsa_system_vgpr_workitem_id 0
		.amdhsa_next_free_vgpr 512
		.amdhsa_next_free_sgpr 62
		.amdhsa_accum_offset 256
		.amdhsa_reserve_vcc 1
		.amdhsa_float_round_mode_32 0
		.amdhsa_float_round_mode_16_64 0
		.amdhsa_float_denorm_mode_32 3
		.amdhsa_float_denorm_mode_16_64 3
		.amdhsa_dx10_clamp 1
		.amdhsa_ieee_mode 1
		.amdhsa_fp16_overflow 0
		.amdhsa_tg_split 0
		.amdhsa_exception_fp_ieee_invalid_op 0
		.amdhsa_exception_fp_denorm_src 0
		.amdhsa_exception_fp_ieee_div_zero 0
		.amdhsa_exception_fp_ieee_overflow 0
		.amdhsa_exception_fp_ieee_underflow 0
		.amdhsa_exception_fp_ieee_inexact 0
		.amdhsa_exception_int_div_zero 0
	.end_amdhsa_kernel
	.text
.Lfunc_end0:
	.size	bluestein_single_back_len1377_dim1_dp_op_CI_CI, .Lfunc_end0-bluestein_single_back_len1377_dim1_dp_op_CI_CI
                                        ; -- End function
	.section	.AMDGPU.csdata,"",@progbits
; Kernel info:
; codeLenInByte = 54948
; NumSgprs: 68
; NumVgprs: 256
; NumAgprs: 256
; TotalNumVgprs: 512
; ScratchSize: 108
; MemoryBound: 0
; FloatMode: 240
; IeeeMode: 1
; LDSByteSize: 22032 bytes/workgroup (compile time only)
; SGPRBlocks: 8
; VGPRBlocks: 63
; NumSGPRsForWavesPerEU: 68
; NumVGPRsForWavesPerEU: 512
; AccumOffset: 256
; Occupancy: 1
; WaveLimiterHint : 1
; COMPUTE_PGM_RSRC2:SCRATCH_EN: 1
; COMPUTE_PGM_RSRC2:USER_SGPR: 2
; COMPUTE_PGM_RSRC2:TRAP_HANDLER: 0
; COMPUTE_PGM_RSRC2:TGID_X_EN: 1
; COMPUTE_PGM_RSRC2:TGID_Y_EN: 0
; COMPUTE_PGM_RSRC2:TGID_Z_EN: 0
; COMPUTE_PGM_RSRC2:TIDIG_COMP_CNT: 0
; COMPUTE_PGM_RSRC3_GFX90A:ACCUM_OFFSET: 63
; COMPUTE_PGM_RSRC3_GFX90A:TG_SPLIT: 0
	.text
	.p2alignl 6, 3212836864
	.fill 256, 4, 3212836864
	.type	__hip_cuid_b5b9672e687877cd,@object ; @__hip_cuid_b5b9672e687877cd
	.section	.bss,"aw",@nobits
	.globl	__hip_cuid_b5b9672e687877cd
__hip_cuid_b5b9672e687877cd:
	.byte	0                               ; 0x0
	.size	__hip_cuid_b5b9672e687877cd, 1

	.ident	"AMD clang version 19.0.0git (https://github.com/RadeonOpenCompute/llvm-project roc-6.4.0 25133 c7fe45cf4b819c5991fe208aaa96edf142730f1d)"
	.section	".note.GNU-stack","",@progbits
	.addrsig
	.addrsig_sym __hip_cuid_b5b9672e687877cd
	.amdgpu_metadata
---
amdhsa.kernels:
  - .agpr_count:     256
    .args:
      - .actual_access:  read_only
        .address_space:  global
        .offset:         0
        .size:           8
        .value_kind:     global_buffer
      - .actual_access:  read_only
        .address_space:  global
        .offset:         8
        .size:           8
        .value_kind:     global_buffer
      - .actual_access:  read_only
        .address_space:  global
        .offset:         16
        .size:           8
        .value_kind:     global_buffer
      - .actual_access:  read_only
        .address_space:  global
        .offset:         24
        .size:           8
        .value_kind:     global_buffer
      - .actual_access:  read_only
        .address_space:  global
        .offset:         32
        .size:           8
        .value_kind:     global_buffer
      - .offset:         40
        .size:           8
        .value_kind:     by_value
      - .address_space:  global
        .offset:         48
        .size:           8
        .value_kind:     global_buffer
      - .address_space:  global
        .offset:         56
        .size:           8
        .value_kind:     global_buffer
      - .address_space:  global
        .offset:         64
        .size:           8
        .value_kind:     global_buffer
      - .address_space:  global
        .offset:         72
        .size:           8
        .value_kind:     global_buffer
      - .offset:         80
        .size:           4
        .value_kind:     by_value
      - .address_space:  global
        .offset:         88
        .size:           8
        .value_kind:     global_buffer
      - .address_space:  global
        .offset:         96
        .size:           8
        .value_kind:     global_buffer
    .group_segment_fixed_size: 22032
    .kernarg_segment_align: 8
    .kernarg_segment_size: 104
    .language:       OpenCL C
    .language_version:
      - 2
      - 0
    .max_flat_workgroup_size: 51
    .name:           bluestein_single_back_len1377_dim1_dp_op_CI_CI
    .private_segment_fixed_size: 108
    .sgpr_count:     68
    .sgpr_spill_count: 0
    .symbol:         bluestein_single_back_len1377_dim1_dp_op_CI_CI.kd
    .uniform_work_group_size: 1
    .uses_dynamic_stack: false
    .vgpr_count:     512
    .vgpr_spill_count: 28
    .wavefront_size: 64
amdhsa.target:   amdgcn-amd-amdhsa--gfx950
amdhsa.version:
  - 1
  - 2
...

	.end_amdgpu_metadata
